;; amdgpu-corpus repo=ROCm/rocFFT kind=compiled arch=gfx1201 opt=O3
	.text
	.amdgcn_target "amdgcn-amd-amdhsa--gfx1201"
	.amdhsa_code_object_version 6
	.protected	fft_rtc_fwd_len2880_factors_10_6_6_2_2_2_wgs_96_tpt_96_halfLds_sp_op_CI_CI_unitstride_sbrr_R2C_dirReg ; -- Begin function fft_rtc_fwd_len2880_factors_10_6_6_2_2_2_wgs_96_tpt_96_halfLds_sp_op_CI_CI_unitstride_sbrr_R2C_dirReg
	.globl	fft_rtc_fwd_len2880_factors_10_6_6_2_2_2_wgs_96_tpt_96_halfLds_sp_op_CI_CI_unitstride_sbrr_R2C_dirReg
	.p2align	8
	.type	fft_rtc_fwd_len2880_factors_10_6_6_2_2_2_wgs_96_tpt_96_halfLds_sp_op_CI_CI_unitstride_sbrr_R2C_dirReg,@function
fft_rtc_fwd_len2880_factors_10_6_6_2_2_2_wgs_96_tpt_96_halfLds_sp_op_CI_CI_unitstride_sbrr_R2C_dirReg: ; @fft_rtc_fwd_len2880_factors_10_6_6_2_2_2_wgs_96_tpt_96_halfLds_sp_op_CI_CI_unitstride_sbrr_R2C_dirReg
; %bb.0:
	s_clause 0x2
	s_load_b128 s[8:11], s[0:1], 0x0
	s_load_b128 s[4:7], s[0:1], 0x58
	;; [unrolled: 1-line block ×3, first 2 shown]
	v_mul_u32_u24_e32 v1, 0x2ab, v0
	v_mov_b32_e32 v3, 0
	s_delay_alu instid0(VALU_DEP_2) | instskip(NEXT) | instid1(VALU_DEP_1)
	v_lshrrev_b32_e32 v1, 16, v1
	v_add_nc_u32_e32 v5, ttmp9, v1
	v_mov_b32_e32 v1, 0
	v_mov_b32_e32 v2, 0
	;; [unrolled: 1-line block ×3, first 2 shown]
	s_wait_kmcnt 0x0
	v_cmp_lt_u64_e64 s2, s[10:11], 2
	s_delay_alu instid0(VALU_DEP_1)
	s_and_b32 vcc_lo, exec_lo, s2
	s_cbranch_vccnz .LBB0_8
; %bb.1:
	s_load_b64 s[2:3], s[0:1], 0x10
	v_mov_b32_e32 v1, 0
	v_mov_b32_e32 v2, 0
	s_add_nc_u64 s[16:17], s[14:15], 8
	s_add_nc_u64 s[18:19], s[12:13], 8
	s_mov_b64 s[20:21], 1
	s_delay_alu instid0(VALU_DEP_1)
	v_dual_mov_b32 v17, v2 :: v_dual_mov_b32 v16, v1
	s_wait_kmcnt 0x0
	s_add_nc_u64 s[22:23], s[2:3], 8
	s_mov_b32 s3, 0
.LBB0_2:                                ; =>This Inner Loop Header: Depth=1
	s_load_b64 s[24:25], s[22:23], 0x0
                                        ; implicit-def: $vgpr18_vgpr19
	s_mov_b32 s2, exec_lo
	s_wait_kmcnt 0x0
	v_or_b32_e32 v4, s25, v6
	s_delay_alu instid0(VALU_DEP_1)
	v_cmpx_ne_u64_e32 0, v[3:4]
	s_wait_alu 0xfffe
	s_xor_b32 s26, exec_lo, s2
	s_cbranch_execz .LBB0_4
; %bb.3:                                ;   in Loop: Header=BB0_2 Depth=1
	s_cvt_f32_u32 s2, s24
	s_cvt_f32_u32 s27, s25
	s_sub_nc_u64 s[30:31], 0, s[24:25]
	s_wait_alu 0xfffe
	s_delay_alu instid0(SALU_CYCLE_1) | instskip(SKIP_1) | instid1(SALU_CYCLE_2)
	s_fmamk_f32 s2, s27, 0x4f800000, s2
	s_wait_alu 0xfffe
	v_s_rcp_f32 s2, s2
	s_delay_alu instid0(TRANS32_DEP_1) | instskip(SKIP_1) | instid1(SALU_CYCLE_2)
	s_mul_f32 s2, s2, 0x5f7ffffc
	s_wait_alu 0xfffe
	s_mul_f32 s27, s2, 0x2f800000
	s_wait_alu 0xfffe
	s_delay_alu instid0(SALU_CYCLE_2) | instskip(SKIP_1) | instid1(SALU_CYCLE_2)
	s_trunc_f32 s27, s27
	s_wait_alu 0xfffe
	s_fmamk_f32 s2, s27, 0xcf800000, s2
	s_cvt_u32_f32 s29, s27
	s_wait_alu 0xfffe
	s_delay_alu instid0(SALU_CYCLE_1) | instskip(SKIP_1) | instid1(SALU_CYCLE_2)
	s_cvt_u32_f32 s28, s2
	s_wait_alu 0xfffe
	s_mul_u64 s[34:35], s[30:31], s[28:29]
	s_wait_alu 0xfffe
	s_mul_hi_u32 s37, s28, s35
	s_mul_i32 s36, s28, s35
	s_mul_hi_u32 s2, s28, s34
	s_mul_i32 s33, s29, s34
	s_wait_alu 0xfffe
	s_add_nc_u64 s[36:37], s[2:3], s[36:37]
	s_mul_hi_u32 s27, s29, s34
	s_mul_hi_u32 s38, s29, s35
	s_add_co_u32 s2, s36, s33
	s_wait_alu 0xfffe
	s_add_co_ci_u32 s2, s37, s27
	s_mul_i32 s34, s29, s35
	s_add_co_ci_u32 s35, s38, 0
	s_wait_alu 0xfffe
	s_add_nc_u64 s[34:35], s[2:3], s[34:35]
	s_wait_alu 0xfffe
	v_add_co_u32 v4, s2, s28, s34
	s_delay_alu instid0(VALU_DEP_1) | instskip(SKIP_1) | instid1(VALU_DEP_1)
	s_cmp_lg_u32 s2, 0
	s_add_co_ci_u32 s29, s29, s35
	v_readfirstlane_b32 s28, v4
	s_wait_alu 0xfffe
	s_delay_alu instid0(VALU_DEP_1)
	s_mul_u64 s[30:31], s[30:31], s[28:29]
	s_wait_alu 0xfffe
	s_mul_hi_u32 s35, s28, s31
	s_mul_i32 s34, s28, s31
	s_mul_hi_u32 s2, s28, s30
	s_mul_i32 s33, s29, s30
	s_wait_alu 0xfffe
	s_add_nc_u64 s[34:35], s[2:3], s[34:35]
	s_mul_hi_u32 s27, s29, s30
	s_mul_hi_u32 s28, s29, s31
	s_wait_alu 0xfffe
	s_add_co_u32 s2, s34, s33
	s_add_co_ci_u32 s2, s35, s27
	s_mul_i32 s30, s29, s31
	s_add_co_ci_u32 s31, s28, 0
	s_wait_alu 0xfffe
	s_add_nc_u64 s[30:31], s[2:3], s[30:31]
	s_wait_alu 0xfffe
	v_add_co_u32 v4, s2, v4, s30
	s_delay_alu instid0(VALU_DEP_1) | instskip(SKIP_1) | instid1(VALU_DEP_1)
	s_cmp_lg_u32 s2, 0
	s_add_co_ci_u32 s2, s29, s31
	v_mul_hi_u32 v13, v5, v4
	s_wait_alu 0xfffe
	v_mad_co_u64_u32 v[7:8], null, v5, s2, 0
	v_mad_co_u64_u32 v[9:10], null, v6, v4, 0
	;; [unrolled: 1-line block ×3, first 2 shown]
	s_delay_alu instid0(VALU_DEP_3) | instskip(SKIP_1) | instid1(VALU_DEP_4)
	v_add_co_u32 v4, vcc_lo, v13, v7
	s_wait_alu 0xfffd
	v_add_co_ci_u32_e32 v7, vcc_lo, 0, v8, vcc_lo
	s_delay_alu instid0(VALU_DEP_2) | instskip(SKIP_1) | instid1(VALU_DEP_2)
	v_add_co_u32 v4, vcc_lo, v4, v9
	s_wait_alu 0xfffd
	v_add_co_ci_u32_e32 v4, vcc_lo, v7, v10, vcc_lo
	s_wait_alu 0xfffd
	v_add_co_ci_u32_e32 v7, vcc_lo, 0, v12, vcc_lo
	s_delay_alu instid0(VALU_DEP_2) | instskip(SKIP_1) | instid1(VALU_DEP_2)
	v_add_co_u32 v4, vcc_lo, v4, v11
	s_wait_alu 0xfffd
	v_add_co_ci_u32_e32 v9, vcc_lo, 0, v7, vcc_lo
	s_delay_alu instid0(VALU_DEP_2) | instskip(SKIP_1) | instid1(VALU_DEP_3)
	v_mul_lo_u32 v10, s25, v4
	v_mad_co_u64_u32 v[7:8], null, s24, v4, 0
	v_mul_lo_u32 v11, s24, v9
	s_delay_alu instid0(VALU_DEP_2) | instskip(NEXT) | instid1(VALU_DEP_2)
	v_sub_co_u32 v7, vcc_lo, v5, v7
	v_add3_u32 v8, v8, v11, v10
	s_delay_alu instid0(VALU_DEP_1) | instskip(SKIP_1) | instid1(VALU_DEP_1)
	v_sub_nc_u32_e32 v10, v6, v8
	s_wait_alu 0xfffd
	v_subrev_co_ci_u32_e64 v10, s2, s25, v10, vcc_lo
	v_add_co_u32 v11, s2, v4, 2
	s_wait_alu 0xf1ff
	v_add_co_ci_u32_e64 v12, s2, 0, v9, s2
	v_sub_co_u32 v13, s2, v7, s24
	v_sub_co_ci_u32_e32 v8, vcc_lo, v6, v8, vcc_lo
	s_wait_alu 0xf1ff
	v_subrev_co_ci_u32_e64 v10, s2, 0, v10, s2
	s_delay_alu instid0(VALU_DEP_3) | instskip(NEXT) | instid1(VALU_DEP_3)
	v_cmp_le_u32_e32 vcc_lo, s24, v13
	v_cmp_eq_u32_e64 s2, s25, v8
	s_wait_alu 0xfffd
	v_cndmask_b32_e64 v13, 0, -1, vcc_lo
	v_cmp_le_u32_e32 vcc_lo, s25, v10
	s_wait_alu 0xfffd
	v_cndmask_b32_e64 v14, 0, -1, vcc_lo
	v_cmp_le_u32_e32 vcc_lo, s24, v7
	;; [unrolled: 3-line block ×3, first 2 shown]
	s_wait_alu 0xfffd
	v_cndmask_b32_e64 v15, 0, -1, vcc_lo
	v_cmp_eq_u32_e32 vcc_lo, s25, v10
	s_wait_alu 0xf1ff
	s_delay_alu instid0(VALU_DEP_2)
	v_cndmask_b32_e64 v7, v15, v7, s2
	s_wait_alu 0xfffd
	v_cndmask_b32_e32 v10, v14, v13, vcc_lo
	v_add_co_u32 v13, vcc_lo, v4, 1
	s_wait_alu 0xfffd
	v_add_co_ci_u32_e32 v14, vcc_lo, 0, v9, vcc_lo
	s_delay_alu instid0(VALU_DEP_3) | instskip(SKIP_1) | instid1(VALU_DEP_2)
	v_cmp_ne_u32_e32 vcc_lo, 0, v10
	s_wait_alu 0xfffd
	v_cndmask_b32_e32 v8, v14, v12, vcc_lo
	v_cndmask_b32_e32 v10, v13, v11, vcc_lo
	v_cmp_ne_u32_e32 vcc_lo, 0, v7
	s_wait_alu 0xfffd
	s_delay_alu instid0(VALU_DEP_2)
	v_dual_cndmask_b32 v19, v9, v8 :: v_dual_cndmask_b32 v18, v4, v10
.LBB0_4:                                ;   in Loop: Header=BB0_2 Depth=1
	s_wait_alu 0xfffe
	s_and_not1_saveexec_b32 s2, s26
	s_cbranch_execz .LBB0_6
; %bb.5:                                ;   in Loop: Header=BB0_2 Depth=1
	v_cvt_f32_u32_e32 v4, s24
	s_sub_co_i32 s26, 0, s24
	v_mov_b32_e32 v19, v3
	s_delay_alu instid0(VALU_DEP_2) | instskip(NEXT) | instid1(TRANS32_DEP_1)
	v_rcp_iflag_f32_e32 v4, v4
	v_mul_f32_e32 v4, 0x4f7ffffe, v4
	s_delay_alu instid0(VALU_DEP_1) | instskip(SKIP_1) | instid1(VALU_DEP_1)
	v_cvt_u32_f32_e32 v4, v4
	s_wait_alu 0xfffe
	v_mul_lo_u32 v7, s26, v4
	s_delay_alu instid0(VALU_DEP_1) | instskip(NEXT) | instid1(VALU_DEP_1)
	v_mul_hi_u32 v7, v4, v7
	v_add_nc_u32_e32 v4, v4, v7
	s_delay_alu instid0(VALU_DEP_1) | instskip(NEXT) | instid1(VALU_DEP_1)
	v_mul_hi_u32 v4, v5, v4
	v_mul_lo_u32 v7, v4, s24
	v_add_nc_u32_e32 v8, 1, v4
	s_delay_alu instid0(VALU_DEP_2) | instskip(NEXT) | instid1(VALU_DEP_1)
	v_sub_nc_u32_e32 v7, v5, v7
	v_subrev_nc_u32_e32 v9, s24, v7
	v_cmp_le_u32_e32 vcc_lo, s24, v7
	s_wait_alu 0xfffd
	s_delay_alu instid0(VALU_DEP_2) | instskip(NEXT) | instid1(VALU_DEP_1)
	v_dual_cndmask_b32 v7, v7, v9 :: v_dual_cndmask_b32 v4, v4, v8
	v_cmp_le_u32_e32 vcc_lo, s24, v7
	s_delay_alu instid0(VALU_DEP_2) | instskip(SKIP_1) | instid1(VALU_DEP_1)
	v_add_nc_u32_e32 v8, 1, v4
	s_wait_alu 0xfffd
	v_cndmask_b32_e32 v18, v4, v8, vcc_lo
.LBB0_6:                                ;   in Loop: Header=BB0_2 Depth=1
	s_wait_alu 0xfffe
	s_or_b32 exec_lo, exec_lo, s2
	v_mul_lo_u32 v4, v19, s24
	s_delay_alu instid0(VALU_DEP_2)
	v_mul_lo_u32 v9, v18, s25
	s_load_b64 s[26:27], s[18:19], 0x0
	v_mad_co_u64_u32 v[7:8], null, v18, s24, 0
	s_load_b64 s[24:25], s[16:17], 0x0
	s_add_nc_u64 s[20:21], s[20:21], 1
	s_add_nc_u64 s[16:17], s[16:17], 8
	s_wait_alu 0xfffe
	v_cmp_ge_u64_e64 s2, s[20:21], s[10:11]
	s_add_nc_u64 s[18:19], s[18:19], 8
	s_add_nc_u64 s[22:23], s[22:23], 8
	v_add3_u32 v4, v8, v9, v4
	v_sub_co_u32 v5, vcc_lo, v5, v7
	s_wait_alu 0xfffd
	s_delay_alu instid0(VALU_DEP_2) | instskip(SKIP_2) | instid1(VALU_DEP_1)
	v_sub_co_ci_u32_e32 v4, vcc_lo, v6, v4, vcc_lo
	s_and_b32 vcc_lo, exec_lo, s2
	s_wait_kmcnt 0x0
	v_mul_lo_u32 v6, s26, v4
	v_mul_lo_u32 v7, s27, v5
	v_mad_co_u64_u32 v[1:2], null, s26, v5, v[1:2]
	v_mul_lo_u32 v4, s24, v4
	v_mul_lo_u32 v8, s25, v5
	v_mad_co_u64_u32 v[16:17], null, s24, v5, v[16:17]
	s_delay_alu instid0(VALU_DEP_4) | instskip(NEXT) | instid1(VALU_DEP_2)
	v_add3_u32 v2, v7, v2, v6
	v_add3_u32 v17, v8, v17, v4
	s_wait_alu 0xfffe
	s_cbranch_vccnz .LBB0_9
; %bb.7:                                ;   in Loop: Header=BB0_2 Depth=1
	v_dual_mov_b32 v5, v18 :: v_dual_mov_b32 v6, v19
	s_branch .LBB0_2
.LBB0_8:
	v_dual_mov_b32 v17, v2 :: v_dual_mov_b32 v16, v1
	v_dual_mov_b32 v19, v6 :: v_dual_mov_b32 v18, v5
.LBB0_9:
	s_load_b64 s[0:1], s[0:1], 0x28
	v_mul_hi_u32 v3, 0x2aaaaab, v0
	s_lshl_b64 s[10:11], s[10:11], 3
                                        ; implicit-def: $vgpr14
                                        ; implicit-def: $vgpr20
                                        ; implicit-def: $vgpr22
                                        ; implicit-def: $vgpr42
                                        ; implicit-def: $vgpr30
                                        ; implicit-def: $vgpr46
                                        ; implicit-def: $vgpr44
                                        ; implicit-def: $vgpr40
                                        ; implicit-def: $vgpr38
                                        ; implicit-def: $vgpr36
                                        ; implicit-def: $vgpr34
                                        ; implicit-def: $vgpr32
                                        ; implicit-def: $vgpr28
                                        ; implicit-def: $vgpr26
                                        ; implicit-def: $vgpr24
	s_wait_kmcnt 0x0
	v_cmp_gt_u64_e32 vcc_lo, s[0:1], v[18:19]
	v_cmp_le_u64_e64 s0, s[0:1], v[18:19]
	s_delay_alu instid0(VALU_DEP_1)
	s_and_saveexec_b32 s1, s0
	s_wait_alu 0xfffe
	s_xor_b32 s0, exec_lo, s1
	s_cbranch_execz .LBB0_11
; %bb.10:
	v_mul_u32_u24_e32 v1, 0x60, v3
                                        ; implicit-def: $vgpr3
	v_mov_b32_e32 v15, 0
	s_delay_alu instid0(VALU_DEP_2) | instskip(NEXT) | instid1(VALU_DEP_2)
	v_sub_nc_u32_e32 v14, v0, v1
                                        ; implicit-def: $vgpr0
                                        ; implicit-def: $vgpr1_vgpr2
	v_mov_b32_e32 v21, v15
	v_mov_b32_e32 v23, v15
	;; [unrolled: 1-line block ×3, first 2 shown]
	s_delay_alu instid0(VALU_DEP_4)
	v_dual_mov_b32 v45, v15 :: v_dual_add_nc_u32 v20, 0x60, v14
	v_add_nc_u32_e32 v22, 0xc0, v14
	v_add_nc_u32_e32 v42, 0x1e0, v14
	;; [unrolled: 1-line block ×4, first 2 shown]
	v_or_b32_e32 v44, 0x180, v14
	v_dual_mov_b32 v43, v15 :: v_dual_add_nc_u32 v40, 0x240, v14
	v_dual_mov_b32 v41, v15 :: v_dual_add_nc_u32 v38, 0x2a0, v14
	v_or_b32_e32 v36, 0x300, v14
	v_dual_mov_b32 v39, v15 :: v_dual_add_nc_u32 v34, 0x360, v14
	v_dual_mov_b32 v37, v15 :: v_dual_add_nc_u32 v32, 0x420, v14
	v_or_b32_e32 v28, 0x480, v14
	v_dual_mov_b32 v35, v15 :: v_dual_add_nc_u32 v26, 0x4e0, v14
	v_dual_mov_b32 v31, v15 :: v_dual_add_nc_u32 v24, 0x540, v14
	v_mov_b32_e32 v33, v15
	v_mov_b32_e32 v29, v15
	;; [unrolled: 1-line block ×4, first 2 shown]
.LBB0_11:
	s_wait_alu 0xfffe
	s_or_saveexec_b32 s1, s0
	s_add_nc_u64 s[2:3], s[14:15], s[10:11]
	s_wait_alu 0xfffe
	s_xor_b32 exec_lo, exec_lo, s1
	s_cbranch_execz .LBB0_13
; %bb.12:
	s_add_nc_u64 s[10:11], s[12:13], s[10:11]
	v_lshlrev_b64_e32 v[1:2], 3, v[1:2]
	s_load_b64 s[10:11], s[10:11], 0x0
	v_mov_b32_e32 v15, 0
	s_wait_kmcnt 0x0
	v_mul_lo_u32 v6, s11, v18
	v_mul_lo_u32 v7, s10, v19
	v_mad_co_u64_u32 v[4:5], null, s10, v18, 0
	s_delay_alu instid0(VALU_DEP_1) | instskip(SKIP_1) | instid1(VALU_DEP_2)
	v_add3_u32 v5, v5, v7, v6
	v_mul_u32_u24_e32 v6, 0x60, v3
	v_lshlrev_b64_e32 v[3:4], 3, v[4:5]
	s_delay_alu instid0(VALU_DEP_2) | instskip(SKIP_3) | instid1(VALU_DEP_4)
	v_sub_nc_u32_e32 v14, v0, v6
	v_mov_b32_e32 v21, v15
	v_mov_b32_e32 v23, v15
	;; [unrolled: 1-line block ×3, first 2 shown]
	v_dual_mov_b32 v45, v15 :: v_dual_add_nc_u32 v42, 0x1e0, v14
	v_add_co_u32 v0, s0, s4, v3
	s_wait_alu 0xf1ff
	v_add_co_ci_u32_e64 v3, s0, s5, v4, s0
	v_lshlrev_b32_e32 v24, 3, v14
	s_delay_alu instid0(VALU_DEP_3) | instskip(SKIP_1) | instid1(VALU_DEP_3)
	v_add_co_u32 v0, s0, v0, v1
	s_wait_alu 0xf1ff
	v_add_co_ci_u32_e64 v1, s0, v3, v2, s0
	s_delay_alu instid0(VALU_DEP_3) | instskip(NEXT) | instid1(VALU_DEP_3)
	v_dual_mov_b32 v35, v15 :: v_dual_add_nc_u32 v94, 0, v24
	v_add_co_u32 v0, s0, v0, v24
	s_wait_alu 0xf1ff
	s_delay_alu instid0(VALU_DEP_3)
	v_add_co_ci_u32_e64 v1, s0, 0, v1, s0
	s_clause 0x1d
	global_load_b64 v[2:3], v[0:1], off offset:2304
	global_load_b64 v[4:5], v[0:1], off
	global_load_b64 v[6:7], v[0:1], off offset:1536
	global_load_b64 v[8:9], v[0:1], off offset:768
	;; [unrolled: 1-line block ×28, first 2 shown]
	v_dual_mov_b32 v43, v15 :: v_dual_add_nc_u32 v40, 0x240, v14
	v_dual_mov_b32 v41, v15 :: v_dual_add_nc_u32 v38, 0x2a0, v14
	;; [unrolled: 1-line block ×9, first 2 shown]
	v_add_nc_u32_e32 v20, 0x60, v14
	v_add_nc_u32_e32 v22, 0xc0, v14
	v_add_nc_u32_e32 v46, 0x120, v14
	v_or_b32_e32 v44, 0x180, v14
	v_or_b32_e32 v36, 0x300, v14
	;; [unrolled: 1-line block ×3, first 2 shown]
	v_add_nc_u32_e32 v95, 0x400, v94
	v_add_nc_u32_e32 v97, 0x1000, v94
	;; [unrolled: 1-line block ×12, first 2 shown]
	s_wait_loadcnt 0x1b
	ds_store_2addr_b64 v95, v[6:7], v[2:3] offset0:64 offset1:160
	s_wait_loadcnt 0x18
	ds_store_2addr_b64 v96, v[10:11], v[12:13] offset0:128 offset1:224
	ds_store_2addr_b64 v94, v[4:5], v[8:9] offset1:96
	s_wait_loadcnt 0x16
	ds_store_2addr_b64 v97, v[48:49], v[50:51] offset0:64 offset1:160
	s_wait_loadcnt 0x14
	ds_store_2addr_b64 v98, v[52:53], v[54:55] offset1:96
	s_wait_loadcnt 0x12
	ds_store_2addr_b64 v99, v[56:57], v[58:59] offset0:64 offset1:160
	s_wait_loadcnt 0x10
	ds_store_2addr_b64 v100, v[60:61], v[62:63] offset0:128 offset1:224
	s_wait_loadcnt 0xe
	ds_store_2addr_b64 v101, v[64:65], v[66:67] offset0:64 offset1:160
	s_wait_loadcnt 0xc
	ds_store_2addr_b64 v102, v[68:69], v[70:71] offset1:96
	s_wait_loadcnt 0xa
	ds_store_2addr_b64 v103, v[72:73], v[74:75] offset0:64 offset1:160
	s_wait_loadcnt 0x8
	ds_store_2addr_b64 v104, v[76:77], v[78:79] offset0:128 offset1:224
	;; [unrolled: 8-line block ×3, first 2 shown]
.LBB0_13:
	s_or_b32 exec_lo, exec_lo, s1
	v_lshlrev_b32_e32 v49, 3, v14
	s_load_b64 s[2:3], s[2:3], 0x0
	global_wb scope:SCOPE_SE
	s_wait_dscnt 0x0
	s_wait_kmcnt 0x0
	s_barrier_signal -1
	s_barrier_wait -1
	v_add_nc_u32_e32 v48, 0, v49
	global_inv scope:SCOPE_SE
	v_cmp_gt_u32_e64 s0, 60, v14
	v_add_nc_u32_e32 v0, 0x1000, v48
	v_add_nc_u32_e32 v67, 0x2000, v48
	;; [unrolled: 1-line block ×4, first 2 shown]
	ds_load_2addr_b64 v[4:7], v48 offset1:96
	ds_load_2addr_b64 v[51:54], v0 offset0:64 offset1:160
	ds_load_2addr_b64 v[87:90], v67 offset0:128 offset1:224
	;; [unrolled: 1-line block ×3, first 2 shown]
	ds_load_2addr_b64 v[106:109], v50 offset1:96
	s_wait_dscnt 0x3
	v_add_f32_e32 v12, v4, v51
	s_wait_dscnt 0x2
	v_dual_sub_f32 v76, v51, v87 :: v_dual_add_f32 v13, v5, v52
	s_wait_dscnt 0x1
	v_add_f32_e32 v78, v88, v93
	s_wait_dscnt 0x0
	v_dual_sub_f32 v57, v52, v107 :: v_dual_add_nc_u32 v0, 0x400, v48
	v_dual_add_f32 v72, v51, v106 :: v_dual_add_nc_u32 v65, 0x2800, v48
	v_dual_sub_f32 v77, v106, v92 :: v_dual_sub_f32 v70, v87, v51
	v_sub_f32_e32 v63, v51, v106
	v_dual_add_f32 v51, v6, v53 :: v_dual_add_nc_u32 v8, 0x1800, v48
	v_sub_f32_e32 v97, v107, v93
	ds_load_2addr_b64 v[0:3], v0 offset0:64 offset1:160
	ds_load_2addr_b64 v[8:11], v8 offset1:96
	v_dual_add_f32 v12, v12, v87 :: v_dual_add_f32 v13, v13, v88
	v_add_f32_e32 v51, v51, v89
	v_dual_sub_f32 v61, v87, v92 :: v_dual_add_f32 v86, v52, v107
	v_dual_sub_f32 v79, v52, v88 :: v_dual_sub_f32 v84, v93, v107
	s_delay_alu instid0(VALU_DEP_4) | instskip(NEXT) | instid1(VALU_DEP_4)
	v_add_f32_e32 v12, v12, v92
	v_dual_sub_f32 v83, v88, v52 :: v_dual_add_f32 v52, v51, v94
	v_dual_add_f32 v51, v7, v54 :: v_dual_sub_f32 v64, v53, v89
	v_dual_sub_f32 v59, v54, v109 :: v_dual_add_f32 v74, v87, v92
	s_delay_alu instid0(VALU_DEP_2)
	v_dual_add_f32 v13, v13, v93 :: v_dual_add_f32 v56, v51, v90
	v_sub_f32_e32 v71, v92, v106
	v_dual_sub_f32 v69, v89, v53 :: v_dual_sub_f32 v68, v54, v90
	v_dual_sub_f32 v102, v90, v54 :: v_dual_add_nc_u32 v51, 0x3800, v48
	v_dual_sub_f32 v92, v108, v94 :: v_dual_add_f32 v105, v54, v109
	v_add_f32_e32 v98, v53, v108
	v_dual_sub_f32 v80, v53, v108 :: v_dual_sub_f32 v103, v95, v109
	v_dual_add_f32 v53, v56, v95 :: v_dual_add_nc_u32 v54, 0x4c00, v48
	v_dual_add_f32 v73, v89, v94 :: v_dual_sub_f32 v58, v90, v95
	v_dual_add_f32 v75, v90, v95 :: v_dual_sub_f32 v60, v89, v94
	ds_load_2addr_b64 v[110:113], v65 offset0:64 offset1:160
	v_dual_add_f32 v90, v52, v108 :: v_dual_add_f32 v91, v53, v109
	s_wait_dscnt 0x1
	v_add_f32_e32 v53, v1, v9
	ds_load_2addr_b64 v[124:127], v54 offset0:64 offset1:160
	ds_load_2addr_b64 v[120:123], v51 offset0:128 offset1:224
	v_dual_add_f32 v118, v12, v106 :: v_dual_add_f32 v117, v13, v107
	v_dual_add_f32 v12, v2, v10 :: v_dual_add_f32 v13, v3, v11
	v_add_f32_e32 v52, v0, v8
	v_dual_sub_f32 v55, v88, v93 :: v_dual_sub_f32 v94, v94, v108
	v_dual_sub_f32 v93, v109, v95 :: v_dual_add_nc_u32 v62, 0x1c00, v48
	v_fma_f32 v74, -0.5, v74, v4
	v_fma_f32 v72, -0.5, v72, v4
	v_add_f32_e32 v102, v102, v103
	v_mul_u32_u24_e32 v4, 10, v14
	v_add_f32_e32 v97, v79, v97
	s_wait_dscnt 0x2
	v_dual_add_f32 v95, v13, v113 :: v_dual_add_f32 v96, v52, v110
	v_dual_sub_f32 v141, v10, v112 :: v_dual_sub_f32 v142, v112, v10
	s_wait_dscnt 0x1
	v_dual_sub_f32 v107, v111, v9 :: v_dual_add_f32 v148, v10, v126
	v_sub_f32_e32 v147, v11, v127
	v_dual_sub_f32 v149, v10, v126 :: v_dual_add_f32 v150, v11, v127
	v_dual_sub_f32 v89, v9, v125 :: v_dual_add_nc_u32 v10, 0x800, v48
	v_dual_add_f32 v56, v12, v112 :: v_dual_add_f32 v53, v53, v111
	s_wait_dscnt 0x0
	v_dual_sub_f32 v140, v113, v123 :: v_dual_sub_f32 v145, v11, v113
	v_dual_sub_f32 v146, v113, v11 :: v_dual_sub_f32 v87, v110, v8
	ds_load_2addr_b64 v[10:13], v10 offset0:128 offset1:224
	ds_load_2addr_b64 v[128:131], v62 offset0:64 offset1:160
	v_add_nc_u32_e32 v52, 0x3000, v48
	v_dual_add_f32 v116, v112, v122 :: v_dual_add_f32 v143, v113, v123
	v_dual_sub_f32 v144, v112, v122 :: v_dual_sub_f32 v85, v111, v121
	v_dual_sub_f32 v88, v8, v110 :: v_dual_add_f32 v113, v111, v121
	v_dual_sub_f32 v81, v110, v120 :: v_dual_sub_f32 v82, v9, v111
	v_dual_add_f32 v111, v8, v124 :: v_dual_add_f32 v104, v95, v123
	v_dual_sub_f32 v8, v8, v124 :: v_dual_add_f32 v119, v9, v125
	v_dual_add_f32 v9, v56, v122 :: v_dual_add_nc_u32 v56, 0x4000, v48
	v_sub_f32_e32 v151, v126, v122
	ds_load_2addr_b64 v[132:135], v52 offset1:96
	v_dual_add_f32 v106, v53, v121 :: v_dual_sub_f32 v99, v120, v124
	v_add_nc_u32_e32 v53, 0x5000, v48
	s_wait_dscnt 0x1
	v_dual_add_f32 v101, v110, v120 :: v_dual_add_f32 v110, v13, v131
	v_dual_add_f32 v96, v96, v120 :: v_dual_sub_f32 v153, v127, v123
	ds_load_2addr_b64 v[136:139], v56 offset0:64 offset1:160
	v_dual_sub_f32 v152, v122, v126 :: v_dual_sub_f32 v95, v125, v121
	v_dual_sub_f32 v154, v123, v127 :: v_dual_sub_f32 v155, v121, v125
	v_sub_f32_e32 v100, v124, v120
	ds_load_2addr_b64 v[120:123], v53 offset0:128 offset1:224
	v_dual_add_f32 v126, v9, v126 :: v_dual_add_f32 v127, v104, v127
	v_dual_add_f32 v9, v96, v124 :: v_dual_add_f32 v108, v11, v129
	;; [unrolled: 1-line block ×3, first 2 shown]
	s_wait_dscnt 0x2
	v_dual_add_f32 v96, v106, v125 :: v_dual_sub_f32 v159, v132, v128
	s_delay_alu instid0(VALU_DEP_3) | instskip(NEXT) | instid1(VALU_DEP_3)
	v_add_f32_e32 v115, v108, v133
	v_add_f32_e32 v114, v104, v132
	;; [unrolled: 1-line block ×3, first 2 shown]
	v_sub_f32_e32 v112, v130, v134
	v_sub_f32_e32 v163, v134, v130
	s_wait_dscnt 0x1
	v_sub_f32_e32 v157, v133, v137
	v_add_f32_e32 v160, v133, v137
	v_add_f32_e32 v162, v134, v138
	;; [unrolled: 1-line block ×3, first 2 shown]
	v_dual_sub_f32 v104, v134, v138 :: v_dual_add_f32 v167, v115, v137
	s_wait_dscnt 0x0
	v_dual_sub_f32 v106, v131, v135 :: v_dual_sub_f32 v169, v121, v137
	v_dual_sub_f32 v134, v135, v131 :: v_dual_sub_f32 v137, v137, v121
	v_dual_sub_f32 v109, v131, v123 :: v_dual_add_f32 v166, v130, v122
	v_sub_f32_e32 v108, v130, v122
	v_dual_add_f32 v130, v131, v123 :: v_dual_sub_f32 v115, v122, v138
	v_add_f32_e32 v131, v114, v136
	v_fma_f32 v170, -0.5, v116, v2
	v_dual_add_f32 v124, v124, v138 :: v_dual_add_f32 v125, v110, v135
	v_dual_add_f32 v156, v132, v136 :: v_dual_sub_f32 v161, v129, v133
	v_dual_sub_f32 v158, v128, v132 :: v_dual_sub_f32 v133, v133, v129
	v_sub_f32_e32 v132, v132, v136
	v_add_f32_e32 v165, v128, v120
	v_dual_sub_f32 v128, v128, v120 :: v_dual_add_f32 v125, v125, v139
	v_sub_f32_e32 v168, v120, v136
	v_sub_f32_e32 v136, v136, v120
	v_add_f32_e32 v120, v131, v120
	v_fma_f32 v131, -0.5, v143, v3
	v_dual_fmamk_f32 v143, v147, 0x3f737871, v170 :: v_dual_add_f32 v116, v124, v122
	v_add_f32_e32 v124, v141, v151
	v_add_f32_e32 v141, v145, v153
	v_fma_f32 v145, -0.5, v78, v5
	s_delay_alu instid0(VALU_DEP_4) | instskip(SKIP_1) | instid1(VALU_DEP_3)
	v_dual_sub_f32 v138, v138, v122 :: v_dual_fmac_f32 v143, 0x3f167918, v140
	v_dual_sub_f32 v110, v135, v139 :: v_dual_fmamk_f32 v151, v57, 0x3f737871, v74
	v_fmamk_f32 v153, v63, 0xbf737871, v145
	v_sub_f32_e32 v135, v129, v121
	v_add_f32_e32 v129, v129, v121
	v_add_f32_e32 v121, v167, v121
	v_fmac_f32_e32 v151, 0x3f167918, v55
	v_dual_fmac_f32 v153, 0xbf167918, v61 :: v_dual_sub_f32 v114, v123, v139
	v_dual_fmac_f32 v143, 0x3e9e377a, v124 :: v_dual_add_f32 v122, v76, v77
	v_dual_fmamk_f32 v76, v149, 0xbf737871, v131 :: v_dual_sub_f32 v139, v139, v123
	v_add_f32_e32 v123, v125, v123
	v_fmamk_f32 v125, v55, 0xbf737871, v72
	s_delay_alu instid0(VALU_DEP_4) | instskip(NEXT) | instid1(VALU_DEP_4)
	v_mul_f32_e32 v167, 0x3f4f1bbd, v143
	v_dual_fmac_f32 v76, 0xbf167918, v144 :: v_dual_mul_f32 v143, 0xbf167918, v143
	v_fmac_f32_e32 v72, 0x3f737871, v55
	v_dual_fmac_f32 v151, 0x3e9e377a, v122 :: v_dual_add_f32 v70, v70, v71
	s_delay_alu instid0(VALU_DEP_3) | instskip(SKIP_1) | instid1(VALU_DEP_4)
	v_dual_add_f32 v71, v142, v152 :: v_dual_fmac_f32 v76, 0x3e9e377a, v141
	v_dual_fmac_f32 v125, 0x3f167918, v57 :: v_dual_add_f32 v142, v146, v154
	v_fmac_f32_e32 v72, 0xbf167918, v57
	v_fmac_f32_e32 v153, 0x3e9e377a, v97
	s_delay_alu instid0(VALU_DEP_4)
	v_fmac_f32_e32 v167, 0x3f167918, v76
	v_fmac_f32_e32 v143, 0x3f4f1bbd, v76
	v_fma_f32 v2, -0.5, v148, v2
	v_add_f32_e32 v77, v117, v127
	v_fma_f32 v5, -0.5, v86, v5
	v_dual_add_f32 v78, v151, v167 :: v_dual_fmac_f32 v125, 0x3e9e377a, v70
	v_dual_fmac_f32 v72, 0x3e9e377a, v70 :: v_dual_add_f32 v79, v153, v143
	v_add_f32_e32 v70, v83, v84
	v_fmamk_f32 v84, v140, 0xbf737871, v2
	v_fma_f32 v3, -0.5, v150, v3
	v_dual_fmamk_f32 v86, v61, 0x3f737871, v5 :: v_dual_add_f32 v103, v159, v136
	v_fmac_f32_e32 v2, 0x3f737871, v140
	s_delay_alu instid0(VALU_DEP_4) | instskip(NEXT) | instid1(VALU_DEP_4)
	v_fmac_f32_e32 v84, 0x3f167918, v147
	v_fmamk_f32 v83, v144, 0x3f737871, v3
	s_delay_alu instid0(VALU_DEP_4) | instskip(SKIP_1) | instid1(VALU_DEP_4)
	v_fmac_f32_e32 v86, 0xbf167918, v63
	v_dual_fmac_f32 v131, 0x3f737871, v149 :: v_dual_add_f32 v76, v118, v126
	v_fmac_f32_e32 v84, 0x3e9e377a, v71
	s_delay_alu instid0(VALU_DEP_4)
	v_fmac_f32_e32 v83, 0xbf167918, v149
	v_fmac_f32_e32 v5, 0xbf737871, v61
	;; [unrolled: 1-line block ×3, first 2 shown]
	v_lshl_add_u32 v4, v4, 3, 0
	v_mul_f32_e32 v146, 0xbf737871, v84
	v_fmac_f32_e32 v83, 0x3e9e377a, v142
	v_fmac_f32_e32 v5, 0x3f167918, v63
	;; [unrolled: 1-line block ×3, first 2 shown]
	global_wb scope:SCOPE_SE
	s_barrier_signal -1
	v_dual_fmac_f32 v146, 0x3e9e377a, v83 :: v_dual_fmac_f32 v5, 0x3e9e377a, v70
	v_fmac_f32_e32 v86, 0x3e9e377a, v70
	v_fmac_f32_e32 v2, 0xbf167918, v147
	;; [unrolled: 1-line block ×3, first 2 shown]
	s_barrier_wait -1
	global_inv scope:SCOPE_SE
	v_fmac_f32_e32 v131, 0x3f167918, v144
	v_fmac_f32_e32 v2, 0x3e9e377a, v71
	v_mul_f32_e32 v142, 0x3f737871, v83
	v_add_f32_e32 v68, v68, v93
	v_fmac_f32_e32 v74, 0xbf737871, v57
	v_fmac_f32_e32 v131, 0x3e9e377a, v141
	v_fma_f32 v113, -0.5, v113, v1
	v_dual_fmac_f32 v142, 0x3e9e377a, v84 :: v_dual_mul_f32 v71, 0x3e9e377a, v2
	v_mul_f32_e32 v148, 0x3e9e377a, v3
	v_fmac_f32_e32 v145, 0x3f737871, v63
	v_fma_f32 v63, -0.5, v129, v11
	v_add_f32_e32 v129, v134, v139
	v_fma_f32 v83, 0x3f737871, v3, -v71
	v_fma_f32 v84, 0xbf737871, v2, -v148
	v_dual_add_f32 v2, v125, v142 :: v_dual_fmac_f32 v1, -0.5, v119
	v_fma_f32 v11, -0.5, v160, v11
	s_delay_alu instid0(VALU_DEP_3)
	v_dual_add_f32 v70, v72, v83 :: v_dual_add_f32 v71, v5, v84
	v_dual_fmac_f32 v170, 0xbf737871, v147 :: v_dual_add_f32 v3, v86, v146
	ds_store_2addr_b64 v4, v[76:77], v[78:79] offset1:1
	ds_store_2addr_b64 v4, v[2:3], v[70:71] offset0:2 offset1:3
	v_dual_sub_f32 v77, v86, v146 :: v_dual_fmac_f32 v170, 0xbf167918, v140
	v_sub_f32_e32 v3, v117, v127
	v_fma_f32 v86, -0.5, v75, v7
	v_dual_fmac_f32 v7, -0.5, v105 :: v_dual_sub_f32 v76, v125, v142
	s_delay_alu instid0(VALU_DEP_4) | instskip(SKIP_2) | instid1(VALU_DEP_4)
	v_fmac_f32_e32 v170, 0x3e9e377a, v124
	v_fma_f32 v124, -0.5, v73, v6
	v_fma_f32 v6, -0.5, v98, v6
	v_fmamk_f32 v117, v60, 0x3f737871, v7
	v_fmac_f32_e32 v7, 0xbf737871, v60
	v_dual_fmac_f32 v145, 0x3f167918, v61 :: v_dual_sub_f32 v70, v151, v167
	v_sub_f32_e32 v71, v153, v143
	v_fma_f32 v61, -0.5, v165, v10
	s_delay_alu instid0(VALU_DEP_4) | instskip(NEXT) | instid1(VALU_DEP_4)
	v_fmac_f32_e32 v7, 0x3f167918, v80
	v_dual_fmac_f32 v145, 0x3e9e377a, v97 :: v_dual_sub_f32 v2, v118, v126
	v_add_f32_e32 v105, v133, v137
	s_delay_alu instid0(VALU_DEP_4) | instskip(NEXT) | instid1(VALU_DEP_4)
	v_dual_fmamk_f32 v118, v157, 0xbf737871, v61 :: v_dual_add_f32 v127, v163, v138
	v_fmac_f32_e32 v7, 0x3e9e377a, v102
	v_mul_f32_e32 v57, 0x3f4f1bbd, v131
	v_fmamk_f32 v119, v81, 0x3f737871, v1
	s_delay_alu instid0(VALU_DEP_4)
	v_fmac_f32_e32 v118, 0x3f167918, v135
	v_add_f32_e32 v107, v107, v155
	v_fmamk_f32 v97, v132, 0x3f737871, v63
	v_fma_f32 v57, 0xbf167918, v170, -v57
	v_fmac_f32_e32 v74, 0xbf167918, v55
	v_mul_f32_e32 v55, 0x3f4f1bbd, v170
	v_fmac_f32_e32 v118, 0x3e9e377a, v103
	v_fmac_f32_e32 v1, 0xbf737871, v81
	s_delay_alu instid0(VALU_DEP_4) | instskip(NEXT) | instid1(VALU_DEP_4)
	v_dual_add_f32 v79, v145, v57 :: v_dual_fmac_f32 v74, 0x3e9e377a, v122
	v_fma_f32 v55, 0x3f167918, v131, -v55
	v_fma_f32 v122, -0.5, v164, v13
	v_fmac_f32_e32 v13, -0.5, v130
	v_fmac_f32_e32 v1, 0x3f167918, v8
	s_delay_alu instid0(VALU_DEP_4)
	v_dual_fmac_f32 v61, 0x3f737871, v157 :: v_dual_add_f32 v78, v74, v55
	ds_store_2addr_b64 v4, v[78:79], v[2:3] offset0:4 offset1:5
	ds_store_2addr_b64 v4, v[70:71], v[76:77] offset0:6 offset1:7
	v_fmamk_f32 v126, v104, 0x3f737871, v13
	v_fmac_f32_e32 v13, 0xbf737871, v104
	v_add_f32_e32 v79, v69, v94
	v_fmac_f32_e32 v1, 0x3e9e377a, v107
	v_fmac_f32_e32 v63, 0xbf737871, v132
	v_fma_f32 v3, -0.5, v166, v12
	v_fmac_f32_e32 v13, 0x3f167918, v108
	v_fmac_f32_e32 v61, 0xbf167918, v135
	v_sub_f32_e32 v73, v74, v55
	v_fmac_f32_e32 v63, 0x3f167918, v128
	v_fmamk_f32 v125, v110, 0xbf737871, v3
	v_fmac_f32_e32 v13, 0x3e9e377a, v129
	v_dual_fmac_f32 v3, 0x3f737871, v110 :: v_dual_sub_f32 v76, v91, v121
	s_delay_alu instid0(VALU_DEP_4) | instskip(SKIP_1) | instid1(VALU_DEP_4)
	v_fmac_f32_e32 v63, 0x3e9e377a, v105
	v_add_f32_e32 v55, v64, v92
	v_mul_f32_e32 v71, 0x3e9e377a, v13
	s_delay_alu instid0(VALU_DEP_4)
	v_fmac_f32_e32 v3, 0xbf167918, v109
	v_fma_f32 v130, -0.5, v162, v12
	v_mul_f32_e32 v2, 0x3e9e377a, v63
	v_sub_f32_e32 v74, v145, v57
	v_add_f32_e32 v57, v161, v169
	v_fmac_f32_e32 v61, 0x3e9e377a, v103
	v_fmac_f32_e32 v3, 0x3e9e377a, v127
	v_fma_f32 v131, -0.5, v101, v0
	v_fma_f32 v0, -0.5, v111, v0
	v_fmac_f32_e32 v126, 0xbf167918, v108
	v_fma_f32 v70, 0xbf737871, v61, -v2
	v_dual_add_f32 v64, v91, v121 :: v_dual_sub_f32 v75, v90, v120
	s_delay_alu instid0(VALU_DEP_3) | instskip(NEXT) | instid1(VALU_DEP_3)
	v_fmac_f32_e32 v126, 0x3e9e377a, v129
	v_add_f32_e32 v2, v7, v70
	v_sub_f32_e32 v70, v7, v70
	v_fma_f32 v7, -0.5, v156, v10
	v_mul_f32_e32 v10, 0x3e9e377a, v3
	v_fma_f32 v3, 0xbf737871, v3, -v71
	v_dual_sub_f32 v71, v72, v83 :: v_dual_sub_f32 v72, v5, v84
	v_fmamk_f32 v83, v59, 0x3f737871, v124
	v_fmamk_f32 v84, v80, 0xbf737871, v86
	v_fmac_f32_e32 v124, 0xbf737871, v59
	v_fmac_f32_e32 v86, 0x3f737871, v80
	v_fma_f32 v10, 0x3f737871, v13, -v10
	v_add_f32_e32 v12, v1, v3
	v_fmac_f32_e32 v84, 0xbf167918, v60
	v_fmac_f32_e32 v124, 0xbf167918, v58
	v_fmac_f32_e32 v86, 0x3f167918, v60
	v_mul_f32_e32 v69, 0x3e9e377a, v61
	s_delay_alu instid0(VALU_DEP_4) | instskip(NEXT) | instid1(VALU_DEP_4)
	v_dual_sub_f32 v61, v1, v3 :: v_dual_fmac_f32 v84, 0x3e9e377a, v68
	v_fmac_f32_e32 v124, 0x3e9e377a, v55
	v_fmamk_f32 v13, v58, 0xbf737871, v6
	v_fmac_f32_e32 v6, 0x3f737871, v58
	v_fmac_f32_e32 v86, 0x3e9e377a, v68
	v_fma_f32 v3, 0x3f737871, v63, -v69
	v_fmamk_f32 v5, v135, 0x3f737871, v7
	v_fmac_f32_e32 v7, 0xbf737871, v135
	v_dual_fmac_f32 v6, 0xbf167918, v59 :: v_dual_fmac_f32 v97, 0xbf167918, v128
	v_fmac_f32_e32 v117, 0xbf167918, v80
	s_delay_alu instid0(VALU_DEP_4) | instskip(NEXT) | instid1(VALU_DEP_4)
	v_fmac_f32_e32 v5, 0x3f167918, v157
	v_fmac_f32_e32 v7, 0xbf167918, v157
	s_delay_alu instid0(VALU_DEP_4) | instskip(SKIP_3) | instid1(VALU_DEP_4)
	v_dual_fmac_f32 v6, 0x3e9e377a, v79 :: v_dual_fmac_f32 v97, 0x3e9e377a, v105
	v_fmac_f32_e32 v83, 0x3f167918, v58
	v_fmac_f32_e32 v125, 0x3f167918, v109
	v_add_f32_e32 v63, v90, v120
	v_add_f32_e32 v1, v6, v3
	v_sub_f32_e32 v69, v6, v3
	v_dual_add_f32 v3, v158, v168 :: v_dual_fmamk_f32 v6, v128, 0xbf737871, v11
	v_fmac_f32_e32 v11, 0x3f737871, v128
	v_fmac_f32_e32 v125, 0x3e9e377a, v127
	ds_store_2addr_b64 v4, v[71:72], v[73:74] offset0:8 offset1:9
	v_fmac_f32_e32 v5, 0x3e9e377a, v3
	v_fmac_f32_e32 v6, 0xbf167918, v132
	;; [unrolled: 1-line block ×3, first 2 shown]
	v_and_b32_e32 v4, 0xffff, v46
	s_delay_alu instid0(VALU_DEP_4) | instskip(NEXT) | instid1(VALU_DEP_4)
	v_mul_f32_e32 v92, 0x3f4f1bbd, v5
	v_fmac_f32_e32 v6, 0x3e9e377a, v57
	v_mul_f32_e32 v5, 0xbf167918, v5
	v_fmac_f32_e32 v11, 0x3e9e377a, v57
	s_delay_alu instid0(VALU_DEP_3) | instskip(NEXT) | instid1(VALU_DEP_3)
	v_fmac_f32_e32 v92, 0x3f167918, v6
	v_fmac_f32_e32 v5, 0x3f4f1bbd, v6
	v_mul_f32_e32 v6, 0xbf737871, v118
	s_delay_alu instid0(VALU_DEP_2) | instskip(SKIP_1) | instid1(VALU_DEP_3)
	v_dual_mul_f32 v57, 0x3f4f1bbd, v11 :: v_dual_add_f32 v78, v84, v5
	v_dual_sub_f32 v84, v84, v5 :: v_dual_fmac_f32 v119, 0xbf167918, v8
	v_fmac_f32_e32 v6, 0x3e9e377a, v97
	v_mul_f32_e32 v5, 0x3f737871, v97
	s_delay_alu instid0(VALU_DEP_3) | instskip(SKIP_1) | instid1(VALU_DEP_1)
	v_fmac_f32_e32 v119, 0x3e9e377a, v107
	v_fmac_f32_e32 v117, 0x3e9e377a, v102
	v_add_f32_e32 v80, v117, v6
	v_dual_sub_f32 v91, v117, v6 :: v_dual_add_f32 v6, v87, v99
	v_fmac_f32_e32 v7, 0x3e9e377a, v3
	s_delay_alu instid0(VALU_DEP_1) | instskip(SKIP_2) | instid1(VALU_DEP_3)
	v_mul_f32_e32 v3, 0x3f4f1bbd, v7
	v_fma_f32 v7, 0xbf167918, v7, -v57
	v_mul_f32_e32 v57, 0x3f737871, v126
	v_fma_f32 v3, 0x3f167918, v11, -v3
	s_delay_alu instid0(VALU_DEP_3) | instskip(SKIP_2) | instid1(VALU_DEP_4)
	v_add_f32_e32 v93, v86, v7
	v_dual_sub_f32 v98, v86, v7 :: v_dual_fmamk_f32 v7, v109, 0x3f737871, v130
	v_dual_fmac_f32 v130, 0xbf737871, v109 :: v_dual_add_f32 v11, v106, v114
	v_sub_f32_e32 v97, v124, v3
	v_fmac_f32_e32 v57, 0x3e9e377a, v125
	s_delay_alu instid0(VALU_DEP_4) | instskip(NEXT) | instid1(VALU_DEP_4)
	v_fmac_f32_e32 v7, 0x3f167918, v110
	v_fmac_f32_e32 v130, 0xbf167918, v110
	;; [unrolled: 1-line block ×3, first 2 shown]
	s_delay_alu instid0(VALU_DEP_1)
	v_dual_sub_f32 v86, v96, v123 :: v_dual_add_f32 v77, v83, v92
	v_dual_sub_f32 v83, v83, v92 :: v_dual_add_f32 v92, v124, v3
	v_fmac_f32_e32 v13, 0x3f167918, v59
	v_mul_f32_e32 v59, 0xbf737871, v125
	v_fmamk_f32 v3, v89, 0x3f737871, v131
	v_fmac_f32_e32 v131, 0xbf737871, v89
	s_delay_alu instid0(VALU_DEP_4) | instskip(NEXT) | instid1(VALU_DEP_4)
	v_fmac_f32_e32 v13, 0x3e9e377a, v79
	v_fmac_f32_e32 v59, 0x3e9e377a, v126
	;; [unrolled: 1-line block ×4, first 2 shown]
	s_delay_alu instid0(VALU_DEP_3) | instskip(NEXT) | instid1(VALU_DEP_3)
	v_dual_fmac_f32 v131, 0xbf167918, v85 :: v_dual_sub_f32 v102, v119, v59
	v_add_f32_e32 v79, v13, v5
	v_dual_sub_f32 v90, v13, v5 :: v_dual_add_f32 v5, v88, v100
	v_fmamk_f32 v13, v85, 0xbf737871, v0
	v_dual_fmac_f32 v0, 0x3f737871, v85 :: v_dual_sub_f32 v85, v9, v116
	s_delay_alu instid0(VALU_DEP_3) | instskip(NEXT) | instid1(VALU_DEP_3)
	v_dual_add_f32 v88, v119, v59 :: v_dual_fmac_f32 v3, 0x3e9e377a, v5
	v_fmac_f32_e32 v13, 0x3f167918, v89
	s_delay_alu instid0(VALU_DEP_3)
	v_fmac_f32_e32 v0, 0xbf167918, v89
	v_fmac_f32_e32 v131, 0x3e9e377a, v5
	v_fmamk_f32 v5, v8, 0xbf737871, v113
	v_fmac_f32_e32 v113, 0x3f737871, v8
	v_fmac_f32_e32 v13, 0x3e9e377a, v6
	;; [unrolled: 1-line block ×3, first 2 shown]
	s_delay_alu instid0(VALU_DEP_4) | instskip(NEXT) | instid1(VALU_DEP_4)
	v_dual_add_f32 v6, v82, v95 :: v_dual_fmac_f32 v5, 0xbf167918, v81
	v_dual_fmac_f32 v113, 0x3f167918, v81 :: v_dual_add_f32 v8, v112, v115
	s_delay_alu instid0(VALU_DEP_3) | instskip(NEXT) | instid1(VALU_DEP_3)
	v_dual_sub_f32 v60, v0, v10 :: v_dual_add_f32 v87, v13, v57
	v_fmac_f32_e32 v5, 0x3e9e377a, v6
	s_delay_alu instid0(VALU_DEP_3) | instskip(SKIP_4) | instid1(VALU_DEP_4)
	v_fmac_f32_e32 v113, 0x3e9e377a, v6
	v_fmamk_f32 v6, v108, 0xbf737871, v122
	v_fmac_f32_e32 v122, 0x3f737871, v108
	v_fmac_f32_e32 v7, 0x3e9e377a, v8
	v_dual_fmac_f32 v130, 0x3e9e377a, v8 :: v_dual_sub_f32 v101, v13, v57
	v_fmac_f32_e32 v6, 0xbf167918, v104
	s_delay_alu instid0(VALU_DEP_4) | instskip(NEXT) | instid1(VALU_DEP_4)
	v_fmac_f32_e32 v122, 0x3f167918, v104
	v_mul_f32_e32 v55, 0x3f4f1bbd, v7
	v_dual_mul_f32 v58, 0xbf167918, v7 :: v_dual_add_f32 v7, v9, v116
	s_delay_alu instid0(VALU_DEP_4) | instskip(NEXT) | instid1(VALU_DEP_4)
	v_fmac_f32_e32 v6, 0x3e9e377a, v11
	v_dual_fmac_f32 v122, 0x3e9e377a, v11 :: v_dual_add_f32 v11, v0, v10
	v_mul_f32_e32 v0, 0x3f4f1bbd, v130
	s_delay_alu instid0(VALU_DEP_3) | instskip(SKIP_1) | instid1(VALU_DEP_4)
	v_dual_add_f32 v8, v96, v123 :: v_dual_fmac_f32 v55, 0x3f167918, v6
	v_fmac_f32_e32 v58, 0x3f4f1bbd, v6
	v_mul_f32_e32 v6, 0x3f4f1bbd, v122
	s_delay_alu instid0(VALU_DEP_4) | instskip(NEXT) | instid1(VALU_DEP_4)
	v_fma_f32 v0, 0x3f167918, v122, -v0
	v_add_f32_e32 v81, v3, v55
	v_sub_f32_e32 v94, v3, v55
	s_delay_alu instid0(VALU_DEP_4)
	v_fma_f32 v3, 0xbf167918, v130, -v6
	v_and_b32_e32 v6, 0xffff, v22
	v_add_f32_e32 v82, v5, v58
	v_sub_f32_e32 v95, v5, v58
	v_mul_i32_i24_e32 v5, 10, v20
	v_add_f32_e32 v99, v131, v0
	v_mul_u32_u24_e32 v9, 0xcccd, v6
	v_sub_f32_e32 v103, v131, v0
	v_mul_i32_i24_e32 v0, 10, v22
	v_lshl_add_u32 v58, v5, 3, 0
	ds_store_2addr_b64 v58, v[63:64], v[77:78] offset1:1
	ds_store_2addr_b64 v58, v[79:80], v[1:2] offset0:2 offset1:3
	v_lshrrev_b32_e32 v68, 19, v9
	v_lshl_add_u32 v57, v0, 3, 0
	v_mul_u32_u24_e32 v2, 0xcccd, v4
	v_dual_add_f32 v100, v113, v3 :: v_dual_and_b32 v5, 0xff, v20
	s_delay_alu instid0(VALU_DEP_4) | instskip(SKIP_1) | instid1(VALU_DEP_4)
	v_mul_lo_u16 v1, v68, 10
	v_sub_f32_e32 v104, v113, v3
	v_lshrrev_b32_e32 v10, 19, v2
	v_mul_u32_u24_e32 v68, 0x1e0, v68
	v_mul_u32_u24_e32 v6, 0x8889, v6
	v_sub_nc_u16 v0, v22, v1
	v_and_b32_e32 v1, 0xff, v14
	v_mul_u32_u24_e32 v4, 0x8889, v4
	s_delay_alu instid0(VALU_DEP_4) | instskip(NEXT) | instid1(VALU_DEP_3)
	v_lshrrev_b32_e32 v6, 21, v6
	v_mul_lo_u16 v1, 0xcd, v1
	s_delay_alu instid0(VALU_DEP_1) | instskip(NEXT) | instid1(VALU_DEP_1)
	v_lshrrev_b16 v63, 11, v1
	v_mul_lo_u16 v9, v63, 10
	s_delay_alu instid0(VALU_DEP_1) | instskip(NEXT) | instid1(VALU_DEP_1)
	v_sub_nc_u16 v9, v14, v9
	v_and_b32_e32 v64, 0xff, v9
	ds_store_2addr_b64 v58, v[92:93], v[75:76] offset0:4 offset1:5
	ds_store_2addr_b64 v58, v[83:84], v[90:91] offset0:6 offset1:7
	;; [unrolled: 1-line block ×3, first 2 shown]
	ds_store_2addr_b64 v57, v[7:8], v[81:82] offset1:1
	ds_store_2addr_b64 v57, v[87:88], v[11:12] offset0:2 offset1:3
	v_and_b32_e32 v69, 0xffff, v0
	v_mul_lo_u16 v0, v10, 10
	v_mul_lo_u16 v7, 0xcd, v5
	ds_store_2addr_b64 v57, v[99:100], v[85:86] offset0:4 offset1:5
	ds_store_2addr_b64 v57, v[94:95], v[101:102] offset0:6 offset1:7
	;; [unrolled: 1-line block ×3, first 2 shown]
	global_wb scope:SCOPE_SE
	s_wait_dscnt 0x0
	v_mul_u32_u24_e32 v2, 5, v69
	v_sub_nc_u16 v0, v46, v0
	v_lshrrev_b16 v72, 11, v7
	v_and_b32_e32 v7, 0xffff, v44
	s_barrier_signal -1
	v_lshlrev_b32_e32 v8, 3, v2
	v_and_b32_e32 v11, 0xffff, v0
	s_barrier_wait -1
	v_mul_u32_u24_e32 v9, 0xcccd, v7
	global_inv scope:SCOPE_SE
	s_clause 0x1
	global_load_b128 v[0:3], v8, s[8:9]
	global_load_b64 v[83:84], v8, s[8:9] offset:32
	v_mul_u32_u24_e32 v12, 5, v11
	v_mul_u32_u24_e32 v59, 5, v64
	v_lshl_add_u32 v61, v46, 3, 0
	v_lshlrev_b32_e32 v64, 3, v64
	s_delay_alu instid0(VALU_DEP_4)
	v_lshlrev_b32_e32 v55, 3, v12
	v_mul_lo_u16 v12, v72, 10
	v_and_b32_e32 v72, 0xffff, v72
	global_load_b128 v[75:78], v55, s[8:9]
	v_sub_nc_u16 v13, v20, v12
	v_lshrrev_b32_e32 v12, 19, v9
	v_lshlrev_b32_e32 v9, 3, v59
	v_mul_u32_u24_e32 v72, 0x1e0, v72
	s_delay_alu instid0(VALU_DEP_4) | instskip(NEXT) | instid1(VALU_DEP_4)
	v_and_b32_e32 v90, 0xff, v13
	v_mul_lo_u16 v13, v12, 10
	global_load_b128 v[96:99], v9, s[8:9]
	v_mul_u32_u24_e32 v59, 5, v90
	v_sub_nc_u16 v13, v44, v13
	v_lshlrev_b32_e32 v90, 3, v90
	s_delay_alu instid0(VALU_DEP_3) | instskip(NEXT) | instid1(VALU_DEP_3)
	v_lshlrev_b32_e32 v59, 3, v59
	v_and_b32_e32 v13, 0xffff, v13
	s_delay_alu instid0(VALU_DEP_3) | instskip(SKIP_2) | instid1(VALU_DEP_1)
	v_add3_u32 v72, 0, v72, v90
	global_load_b64 v[70:71], v59, s[8:9] offset:32
	v_mul_u32_u24_e32 v60, 5, v13
	v_lshlrev_b32_e32 v60, 3, v60
	s_clause 0x9
	global_load_b64 v[87:88], v55, s[8:9] offset:32
	global_load_b64 v[91:92], v60, s[8:9] offset:32
	;; [unrolled: 1-line block ×3, first 2 shown]
	global_load_b128 v[104:107], v60, s[8:9] offset:16
	global_load_b128 v[108:111], v55, s[8:9] offset:16
	;; [unrolled: 1-line block ×5, first 2 shown]
	global_load_b128 v[124:127], v60, s[8:9]
	global_load_b128 v[128:131], v59, s[8:9]
	v_add_nc_u32_e32 v8, 0x1400, v48
	ds_load_2addr_b64 v[79:82], v8 offset0:32 offset1:128
	ds_load_2addr_b64 v[100:103], v67 offset0:128 offset1:224
	v_lshl_add_u32 v59, v42, 3, 0
	v_lshl_add_u32 v55, v30, 3, 0
	ds_load_2addr_b64 v[132:135], v54 offset0:64 offset1:160
	v_lshl_add_u32 v60, v44, 3, 0
	ds_load_b64 v[146:147], v59
	ds_load_b64 v[148:149], v55
	s_wait_loadcnt_dscnt 0xe04
	v_mul_f32_e32 v9, v80, v1
	s_wait_dscnt 0x3
	v_dual_mul_f32 v86, v79, v1 :: v_dual_mul_f32 v1, v101, v3
	v_mul_f32_e32 v95, v100, v3
	s_delay_alu instid0(VALU_DEP_3) | instskip(NEXT) | instid1(VALU_DEP_3)
	v_fma_f32 v85, v79, v0, -v9
	v_fmac_f32_e32 v86, v80, v0
	s_delay_alu instid0(VALU_DEP_4) | instskip(NEXT) | instid1(VALU_DEP_4)
	v_fma_f32 v94, v100, v2, -v1
	v_fmac_f32_e32 v95, v101, v2
	s_wait_loadcnt 0xc
	v_mul_f32_e32 v3, v82, v76
	v_dual_mul_f32 v74, v81, v76 :: v_dual_mul_f32 v9, v103, v78
	v_mul_f32_e32 v80, v102, v78
	s_delay_alu instid0(VALU_DEP_3)
	v_fma_f32 v73, v81, v75, -v3
	ds_load_2addr_b64 v[136:139], v53 offset0:128 offset1:224
	ds_load_b64 v[2:3], v61
	ds_load_b64 v[0:1], v60
	ds_load_2addr_b64 v[140:143], v50 offset1:96
	v_fmac_f32_e32 v74, v82, v75
	v_fma_f32 v82, v102, v77, -v9
	s_wait_loadcnt_dscnt 0xb05
	v_mul_f32_e32 v150, v97, v146
	s_wait_dscnt 0x4
	v_mul_f32_e32 v9, v149, v99
	v_mul_f32_e32 v76, v97, v147
	v_dual_mul_f32 v151, v148, v99 :: v_dual_fmac_f32 v80, v103, v77
	v_fmac_f32_e32 v150, v96, v147
	s_delay_alu instid0(VALU_DEP_4)
	v_fma_f32 v147, v148, v98, -v9
	v_mul_f32_e32 v9, v135, v84
	v_fma_f32 v146, v96, v146, -v76
	v_dual_fmac_f32 v151, v149, v98 :: v_dual_mul_f32 v96, v134, v84
	s_wait_loadcnt 0xa
	v_mul_f32_e32 v75, v133, v71
	v_mul_f32_e32 v102, v132, v71
	ds_load_2addr_b64 v[98:101], v66 offset0:64 offset1:160
	v_fma_f32 v97, v134, v83, -v9
	v_fmac_f32_e32 v96, v135, v83
	v_fma_f32 v103, v132, v70, -v75
	s_wait_loadcnt_dscnt 0x701
	v_mul_f32_e32 v9, v143, v145
	s_wait_loadcnt 0x6
	v_dual_mul_f32 v145, v142, v145 :: v_dual_mul_f32 v76, v141, v107
	v_dual_mul_f32 v75, v140, v107 :: v_dual_fmac_f32 v102, v133, v70
	v_mul_f32_e32 v70, v137, v88
	ds_load_2addr_b64 v[132:135], v56 offset0:64 offset1:160
	v_fma_f32 v148, v142, v144, -v9
	v_fmac_f32_e32 v145, v143, v144
	v_fma_f32 v78, v140, v106, -v76
	v_fmac_f32_e32 v75, v141, v106
	ds_load_2addr_b64 v[140:143], v51 offset0:128 offset1:224
	v_mul_f32_e32 v79, v136, v88
	v_mul_f32_e32 v71, v139, v92
	v_fma_f32 v81, v136, v87, -v70
	s_wait_dscnt 0x2
	v_dual_mul_f32 v70, v138, v92 :: v_dual_mul_f32 v9, v101, v105
	v_fmac_f32_e32 v79, v137, v87
	v_fma_f32 v71, v138, v91, -v71
	v_mul_f32_e32 v76, v100, v105
	s_delay_alu instid0(VALU_DEP_4)
	v_fmac_f32_e32 v70, v139, v91
	ds_load_2addr_b64 v[136:139], v52 offset1:96
	s_wait_loadcnt 0x5
	v_mul_f32_e32 v83, v99, v109
	v_fma_f32 v77, v100, v104, -v9
	v_dual_mul_f32 v87, v98, v109 :: v_dual_fmac_f32 v76, v101, v104
	s_wait_dscnt 0x2
	v_mul_f32_e32 v9, v135, v111
	v_fma_f32 v88, v98, v108, -v83
	v_mul_f32_e32 v89, v134, v111
	s_wait_loadcnt 0x4
	v_mul_f32_e32 v83, v133, v115
	ds_load_2addr_b64 v[104:107], v65 offset0:64 offset1:160
	s_wait_loadcnt_dscnt 0x302
	v_mul_f32_e32 v91, v143, v119
	v_fma_f32 v93, v134, v110, -v9
	v_dual_mul_f32 v98, v132, v115 :: v_dual_fmac_f32 v89, v135, v110
	v_mul_f32_e32 v135, v142, v119
	s_delay_alu instid0(VALU_DEP_4)
	v_fma_f32 v134, v142, v118, -v91
	v_add_nc_u32_e32 v9, 0x100, v48
	v_fmac_f32_e32 v87, v99, v108
	v_fma_f32 v99, v132, v114, -v83
	s_wait_dscnt 0x1
	v_dual_fmac_f32 v98, v133, v114 :: v_dual_mul_f32 v83, v139, v113
	v_mul_f32_e32 v100, v138, v113
	ds_load_2addr_stride64_b64 v[108:111], v9 offset0:13 offset1:16
	v_mul_f32_e32 v84, v137, v117
	v_mul_f32_e32 v132, v136, v117
	v_fma_f32 v101, v138, v112, -v83
	v_fmac_f32_e32 v100, v139, v112
	ds_load_2addr_stride64_b64 v[112:115], v48 offset1:9
	v_fma_f32 v133, v136, v116, -v84
	v_fmac_f32_e32 v132, v137, v116
	s_wait_loadcnt 0x2
	v_mul_f32_e32 v116, v140, v123
	s_wait_dscnt 0x2
	v_mul_f32_e32 v84, v107, v121
	v_mul_f32_e32 v117, v106, v121
	;; [unrolled: 1-line block ×3, first 2 shown]
	v_fmac_f32_e32 v135, v143, v118
	v_fmac_f32_e32 v116, v141, v122
	v_fma_f32 v106, v106, v120, -v84
	s_wait_loadcnt 0x1
	v_dual_fmac_f32 v117, v107, v120 :: v_dual_mul_f32 v84, v105, v127
	v_fma_f32 v118, v140, v122, -v83
	v_mul_f32_e32 v92, v104, v127
	v_and_b32_e32 v63, 0xffff, v63
	s_wait_dscnt 0x1
	v_mul_f32_e32 v107, v109, v125
	v_mul_f32_e32 v83, v108, v125
	v_fma_f32 v91, v104, v126, -v84
	s_wait_loadcnt 0x0
	v_dual_mul_f32 v119, v111, v131 :: v_dual_fmac_f32 v92, v105, v126
	v_fma_f32 v84, v108, v124, -v107
	s_wait_dscnt 0x0
	v_mul_f32_e32 v104, v115, v129
	v_dual_mul_f32 v122, v114, v129 :: v_dual_add_f32 v107, v151, v116
	v_fmac_f32_e32 v83, v109, v124
	v_add_f32_e32 v105, v147, v118
	s_delay_alu instid0(VALU_DEP_4) | instskip(NEXT) | instid1(VALU_DEP_4)
	v_fma_f32 v123, v114, v128, -v104
	v_fmac_f32_e32 v122, v115, v128
	v_fma_f32 v124, -0.5, v107, v113
	v_dual_add_f32 v104, v117, v145 :: v_dual_sub_f32 v115, v147, v118
	v_fma_f32 v120, v110, v130, -v119
	v_mul_f32_e32 v121, v110, v131
	v_fma_f32 v119, -0.5, v105, v112
	v_add_f32_e32 v108, v106, v148
	v_dual_add_f32 v109, v150, v117 :: v_dual_fmac_f32 v150, -0.5, v104
	v_sub_f32_e32 v110, v106, v148
	v_fmamk_f32 v128, v115, 0xbf5db3d7, v124
	v_fmac_f32_e32 v124, 0x3f5db3d7, v115
	v_dual_add_f32 v105, v113, v151 :: v_dual_add_f32 v104, v146, v106
	v_fmac_f32_e32 v146, -0.5, v108
	v_dual_sub_f32 v108, v117, v145 :: v_dual_add_f32 v107, v112, v147
	s_delay_alu instid0(VALU_DEP_3) | instskip(SKIP_1) | instid1(VALU_DEP_3)
	v_add_f32_e32 v113, v105, v116
	v_dual_fmamk_f32 v105, v110, 0xbf5db3d7, v150 :: v_dual_sub_f32 v112, v151, v116
	v_fmamk_f32 v106, v108, 0x3f5db3d7, v146
	v_mul_u32_u24_e32 v63, 0x1e0, v63
	s_delay_alu instid0(VALU_DEP_3) | instskip(SKIP_2) | instid1(VALU_DEP_4)
	v_dual_add_f32 v114, v107, v118 :: v_dual_mul_f32 v117, 0x3f5db3d7, v105
	v_add_f32_e32 v116, v104, v148
	v_fmamk_f32 v126, v112, 0x3f5db3d7, v119
	v_add3_u32 v127, 0, v63, v64
	v_mad_i32_i24 v64, 0xffffffb8, v20, v58
	v_dual_fmac_f32 v117, 0.5, v106 :: v_dual_fmac_f32 v146, 0xbf5db3d7, v108
	v_fmac_f32_e32 v150, 0x3f5db3d7, v110
	v_mad_i32_i24 v63, 0xffffffb8, v22, v57
	v_mul_f32_e32 v118, 0xbf5db3d7, v106
	v_dual_fmac_f32 v121, v111, v130 :: v_dual_add_f32 v104, v114, v116
	v_mul_f32_e32 v129, -0.5, v146
	v_dual_mul_f32 v130, -0.5, v150 :: v_dual_fmac_f32 v119, 0xbf5db3d7, v112
	v_sub_f32_e32 v112, v114, v116
	v_sub_f32_e32 v116, v126, v117
	v_add_f32_e32 v125, v109, v145
	ds_load_b64 v[108:109], v64
	ds_load_b64 v[110:111], v63
	v_dual_fmac_f32 v118, 0.5, v105 :: v_dual_fmac_f32 v129, 0x3f5db3d7, v150
	v_dual_fmac_f32 v130, 0xbf5db3d7, v146 :: v_dual_add_f32 v105, v113, v125
	s_delay_alu instid0(VALU_DEP_2) | instskip(SKIP_1) | instid1(VALU_DEP_3)
	v_dual_add_f32 v106, v126, v117 :: v_dual_add_f32 v107, v128, v118
	v_sub_f32_e32 v113, v113, v125
	v_dual_add_f32 v114, v119, v129 :: v_dual_add_f32 v115, v124, v130
	global_wb scope:SCOPE_SE
	s_wait_dscnt 0x0
	s_barrier_signal -1
	s_barrier_wait -1
	global_inv scope:SCOPE_SE
	ds_store_2addr_b64 v127, v[104:105], v[106:107] offset1:10
	ds_store_2addr_b64 v127, v[114:115], v[112:113] offset0:20 offset1:30
	v_add_f32_e32 v107, v132, v102
	v_add_f32_e32 v105, v121, v135
	v_dual_add_f32 v113, v133, v103 :: v_dual_add_f32 v114, v122, v132
	v_add_f32_e32 v104, v109, v121
	s_delay_alu instid0(VALU_DEP_4)
	v_fmac_f32_e32 v122, -0.5, v107
	v_sub_f32_e32 v115, v133, v103
	v_dual_sub_f32 v117, v128, v118 :: v_dual_sub_f32 v118, v119, v129
	v_sub_f32_e32 v119, v124, v130
	v_add_f32_e32 v107, v123, v133
	v_fmac_f32_e32 v123, -0.5, v113
	v_sub_f32_e32 v113, v132, v102
	v_fmac_f32_e32 v109, -0.5, v105
	v_fmamk_f32 v105, v115, 0xbf5db3d7, v122
	v_fmac_f32_e32 v122, 0x3f5db3d7, v115
	v_add_f32_e32 v112, v104, v135
	v_add_f32_e32 v104, v108, v120
	ds_store_2addr_b64 v127, v[116:117], v[118:119] offset0:40 offset1:50
	v_fmamk_f32 v117, v113, 0x3f5db3d7, v123
	v_mul_f32_e32 v119, 0x3f5db3d7, v105
	v_dual_fmac_f32 v123, 0xbf5db3d7, v113 :: v_dual_add_f32 v116, v104, v134
	v_add_f32_e32 v104, v120, v134
	v_sub_f32_e32 v106, v121, v135
	v_sub_f32_e32 v118, v120, v134
	v_mul_f32_e32 v120, 0xbf5db3d7, v117
	v_fmac_f32_e32 v119, 0.5, v117
	v_fma_f32 v108, -0.5, v104, v108
	v_mul_f32_e32 v117, -0.5, v123
	v_dual_add_f32 v107, v107, v103 :: v_dual_add_f32 v114, v114, v102
	v_fmac_f32_e32 v120, 0.5, v105
	s_delay_alu instid0(VALU_DEP_4) | instskip(SKIP_1) | instid1(VALU_DEP_4)
	v_fmamk_f32 v90, v106, 0x3f5db3d7, v108
	v_fmac_f32_e32 v108, 0xbf5db3d7, v106
	v_dual_fmac_f32 v117, 0x3f5db3d7, v122 :: v_dual_add_f32 v102, v116, v107
	v_add_f32_e32 v103, v112, v114
	v_dual_fmamk_f32 v115, v118, 0xbf5db3d7, v109 :: v_dual_sub_f32 v106, v116, v107
	v_sub_f32_e32 v107, v112, v114
	s_delay_alu instid0(VALU_DEP_4)
	v_add_f32_e32 v112, v108, v117
	v_sub_f32_e32 v108, v108, v117
	v_dual_add_f32 v117, v100, v96 :: v_dual_add_f32 v104, v90, v119
	v_dual_sub_f32 v114, v90, v119 :: v_dual_add_f32 v119, v101, v97
	v_add_f32_e32 v105, v115, v120
	v_sub_f32_e32 v115, v115, v120
	v_add_f32_e32 v116, v95, v98
	v_add_f32_e32 v120, v86, v100
	v_fmac_f32_e32 v86, -0.5, v117
	v_add_f32_e32 v117, v85, v101
	v_sub_f32_e32 v101, v101, v97
	v_mul_f32_e32 v121, -0.5, v122
	v_dual_fmac_f32 v109, 0x3f5db3d7, v118 :: v_dual_add_f32 v90, v111, v95
	v_dual_add_f32 v118, v110, v94 :: v_dual_fmac_f32 v85, -0.5, v119
	v_sub_f32_e32 v100, v100, v96
	v_dual_fmac_f32 v111, -0.5, v116 :: v_dual_fmamk_f32 v116, v101, 0xbf5db3d7, v86
	v_fmac_f32_e32 v121, 0xbf5db3d7, v123
	v_sub_f32_e32 v95, v95, v98
	v_add_f32_e32 v90, v90, v98
	v_add_f32_e32 v98, v118, v99
	v_dual_fmamk_f32 v118, v100, 0x3f5db3d7, v85 :: v_dual_add_f32 v119, v94, v99
	v_add_f32_e32 v97, v117, v97
	v_mul_f32_e32 v117, 0x3f5db3d7, v116
	v_fmac_f32_e32 v85, 0xbf5db3d7, v100
	v_fmac_f32_e32 v86, 0x3f5db3d7, v101
	v_add_f32_e32 v113, v109, v121
	v_sub_f32_e32 v109, v109, v121
	v_sub_f32_e32 v99, v94, v99
	v_mul_f32_e32 v121, 0xbf5db3d7, v118
	v_fma_f32 v110, -0.5, v119, v110
	v_dual_fmac_f32 v117, 0.5, v118 :: v_dual_mul_f32 v118, -0.5, v85
	v_mul_f32_e32 v119, -0.5, v86
	v_dual_add_f32 v96, v120, v96 :: v_dual_lshlrev_b32 v69, 3, v69
	s_delay_alu instid0(VALU_DEP_4)
	v_dual_fmac_f32 v121, 0.5, v116 :: v_dual_fmamk_f32 v100, v95, 0x3f5db3d7, v110
	v_dual_fmamk_f32 v101, v99, 0xbf5db3d7, v111 :: v_dual_fmac_f32 v110, 0xbf5db3d7, v95
	v_dual_fmac_f32 v111, 0x3f5db3d7, v99 :: v_dual_fmac_f32 v118, 0x3f5db3d7, v86
	v_fmac_f32_e32 v119, 0xbf5db3d7, v85
	v_add3_u32 v116, 0, v68, v69
	v_add_f32_e32 v68, v98, v97
	v_dual_add_f32 v69, v90, v96 :: v_dual_add_f32 v94, v100, v117
	v_add_f32_e32 v95, v101, v121
	v_sub_f32_e32 v85, v98, v97
	v_sub_f32_e32 v86, v90, v96
	v_dual_add_f32 v96, v110, v118 :: v_dual_add_f32 v97, v111, v119
	ds_store_2addr_b64 v72, v[102:103], v[104:105] offset1:10
	ds_store_2addr_b64 v72, v[112:113], v[106:107] offset0:20 offset1:30
	ds_store_2addr_b64 v72, v[114:115], v[108:109] offset0:40 offset1:50
	ds_store_2addr_b64 v116, v[68:69], v[94:95] offset1:10
	ds_store_2addr_b64 v116, v[96:97], v[85:86] offset0:20 offset1:30
	v_add_f32_e32 v72, v80, v89
	v_add_f32_e32 v90, v82, v93
	v_dual_add_f32 v94, v2, v82 :: v_dual_add_f32 v95, v3, v80
	s_delay_alu instid0(VALU_DEP_3) | instskip(NEXT) | instid1(VALU_DEP_3)
	v_dual_sub_f32 v82, v82, v93 :: v_dual_fmac_f32 v3, -0.5, v72
	v_fma_f32 v2, -0.5, v90, v2
	v_sub_f32_e32 v72, v80, v89
	s_delay_alu instid0(VALU_DEP_4) | instskip(SKIP_3) | instid1(VALU_DEP_3)
	v_add_f32_e32 v80, v94, v93
	v_dual_add_f32 v90, v88, v81 :: v_dual_add_f32 v93, v87, v79
	v_add_f32_e32 v96, v73, v88
	v_sub_f32_e32 v88, v88, v81
	v_dual_fmamk_f32 v94, v72, 0x3f5db3d7, v2 :: v_dual_fmac_f32 v73, -0.5, v90
	v_add_f32_e32 v90, v74, v87
	v_dual_fmac_f32 v74, -0.5, v93 :: v_dual_sub_f32 v87, v87, v79
	v_dual_fmac_f32 v2, 0xbf5db3d7, v72 :: v_dual_add_f32 v89, v95, v89
	v_fmamk_f32 v93, v82, 0xbf5db3d7, v3
	s_delay_alu instid0(VALU_DEP_3) | instskip(NEXT) | instid1(VALU_DEP_4)
	v_fmamk_f32 v95, v88, 0xbf5db3d7, v74
	v_fmamk_f32 v72, v87, 0x3f5db3d7, v73
	v_fmac_f32_e32 v74, 0x3f5db3d7, v88
	v_fmac_f32_e32 v73, 0xbf5db3d7, v87
	;; [unrolled: 1-line block ×3, first 2 shown]
	v_add_f32_e32 v81, v96, v81
	s_delay_alu instid0(VALU_DEP_4) | instskip(NEXT) | instid1(VALU_DEP_4)
	v_dual_mul_f32 v97, 0xbf5db3d7, v72 :: v_dual_mul_f32 v88, -0.5, v74
	v_dual_mul_f32 v96, 0x3f5db3d7, v95 :: v_dual_mul_f32 v87, -0.5, v73
	v_add_f32_e32 v82, v90, v79
	s_delay_alu instid0(VALU_DEP_3) | instskip(NEXT) | instid1(VALU_DEP_3)
	v_dual_fmac_f32 v97, 0.5, v95 :: v_dual_fmac_f32 v88, 0xbf5db3d7, v73
	v_dual_fmac_f32 v96, 0.5, v72 :: v_dual_fmac_f32 v87, 0x3f5db3d7, v74
	s_delay_alu instid0(VALU_DEP_3) | instskip(SKIP_1) | instid1(VALU_DEP_4)
	v_dual_add_f32 v72, v80, v81 :: v_dual_add_f32 v73, v89, v82
	v_dual_sub_f32 v79, v80, v81 :: v_dual_sub_f32 v80, v89, v82
	v_add_f32_e32 v82, v3, v88
	v_dual_sub_f32 v3, v3, v88 :: v_dual_add_f32 v88, v93, v97
	v_add_f32_e32 v74, v92, v75
	v_dual_sub_f32 v90, v93, v97 :: v_dual_add_f32 v93, v0, v91
	v_add_f32_e32 v81, v2, v87
	v_sub_f32_e32 v2, v2, v87
	v_add_f32_e32 v87, v94, v96
	v_dual_sub_f32 v89, v94, v96 :: v_dual_add_f32 v94, v91, v78
	v_add_f32_e32 v95, v1, v92
	v_dual_fmac_f32 v1, -0.5, v74 :: v_dual_sub_f32 v74, v92, v75
	v_add_f32_e32 v92, v93, v78
	v_add_f32_e32 v93, v77, v71
	v_fma_f32 v0, -0.5, v94, v0
	v_sub_f32_e32 v78, v91, v78
	v_add_f32_e32 v91, v76, v70
	v_add_f32_e32 v96, v84, v77
	v_dual_fmac_f32 v84, -0.5, v93 :: v_dual_add_f32 v93, v83, v76
	v_sub_f32_e32 v76, v76, v70
	s_delay_alu instid0(VALU_DEP_4) | instskip(SKIP_1) | instid1(VALU_DEP_3)
	v_dual_fmamk_f32 v94, v74, 0x3f5db3d7, v0 :: v_dual_fmac_f32 v83, -0.5, v91
	v_dual_sub_f32 v77, v77, v71 :: v_dual_fmac_f32 v0, 0xbf5db3d7, v74
	v_fmamk_f32 v74, v76, 0x3f5db3d7, v84
	v_fmac_f32_e32 v84, 0xbf5db3d7, v76
	s_delay_alu instid0(VALU_DEP_3) | instskip(SKIP_1) | instid1(VALU_DEP_3)
	v_dual_add_f32 v76, v96, v71 :: v_dual_fmamk_f32 v91, v77, 0xbf5db3d7, v83
	v_fmac_f32_e32 v83, 0x3f5db3d7, v77
	v_dual_add_f32 v75, v95, v75 :: v_dual_mul_f32 v96, -0.5, v84
	v_fmamk_f32 v95, v78, 0xbf5db3d7, v1
	s_delay_alu instid0(VALU_DEP_4) | instskip(NEXT) | instid1(VALU_DEP_4)
	v_dual_fmac_f32 v1, 0x3f5db3d7, v78 :: v_dual_mul_f32 v78, 0x3f5db3d7, v91
	v_mul_f32_e32 v98, -0.5, v83
	s_delay_alu instid0(VALU_DEP_4)
	v_fmac_f32_e32 v96, 0x3f5db3d7, v83
	v_mul_f32_e32 v97, 0xbf5db3d7, v74
	v_add_f32_e32 v77, v93, v70
	v_fmac_f32_e32 v78, 0.5, v74
	v_fmac_f32_e32 v98, 0xbf5db3d7, v84
	v_add_f32_e32 v70, v92, v76
	v_sub_f32_e32 v74, v92, v76
	v_add_f32_e32 v76, v0, v96
	v_sub_f32_e32 v83, v0, v96
	v_subrev_nc_u32_e32 v0, 60, v14
	v_sub_f32_e32 v85, v100, v117
	v_add_f32_e32 v71, v75, v77
	v_sub_f32_e32 v75, v75, v77
	v_add_f32_e32 v77, v1, v98
	v_sub_f32_e32 v84, v1, v98
	v_mul_u32_u24_e32 v1, 0x1e0, v10
	v_lshlrev_b32_e32 v10, 3, v11
	v_mul_u32_u24_e32 v11, 0x1e0, v12
	v_lshlrev_b32_e32 v12, 3, v13
	s_wait_alu 0xf1ff
	v_cndmask_b32_e64 v13, v0, v14, s0
	v_fmac_f32_e32 v97, 0.5, v91
	v_dual_sub_f32 v69, v111, v119 :: v_dual_sub_f32 v68, v110, v118
	v_sub_f32_e32 v86, v101, v121
	v_add3_u32 v10, 0, v1, v10
	v_mul_i32_i24_e32 v0, 5, v13
	v_mov_b32_e32 v1, 0
	v_dual_add_f32 v91, v94, v78 :: v_dual_add_f32 v92, v95, v97
	v_add3_u32 v11, 0, v11, v12
	ds_store_2addr_b64 v116, v[85:86], v[68:69] offset0:40 offset1:50
	ds_store_2addr_b64 v10, v[72:73], v[87:88] offset1:10
	ds_store_2addr_b64 v10, v[81:82], v[79:80] offset0:20 offset1:30
	ds_store_2addr_b64 v10, v[89:90], v[2:3] offset0:40 offset1:50
	ds_store_2addr_b64 v11, v[70:71], v[91:92] offset1:10
	v_lshlrev_b64_e32 v[2:3], 3, v[0:1]
	v_mul_lo_u16 v0, v6, 60
	v_dual_sub_f32 v93, v94, v78 :: v_dual_sub_f32 v94, v95, v97
	ds_store_2addr_b64 v11, v[76:77], v[74:75] offset0:20 offset1:30
	ds_store_2addr_b64 v11, v[93:94], v[83:84] offset0:40 offset1:50
	v_sub_nc_u16 v10, v22, v0
	v_lshrrev_b32_e32 v0, 21, v4
	v_mul_lo_u16 v4, 0x89, v5
	v_add_co_u32 v2, s0, s8, v2
	s_delay_alu instid0(VALU_DEP_4)
	v_and_b32_e32 v10, 0xffff, v10
	s_wait_alu 0xf1ff
	v_add_co_ci_u32_e64 v3, s0, s9, v3, s0
	v_lshrrev_b16 v72, 13, v4
	v_mul_lo_u16 v4, v0, 60
	v_mul_u32_u24_e32 v5, 5, v10
	global_wb scope:SCOPE_SE
	s_wait_dscnt 0x0
	s_barrier_signal -1
	v_mul_lo_u16 v11, v72, 60
	v_sub_nc_u16 v4, v46, v4
	s_barrier_wait -1
	global_inv scope:SCOPE_SE
	global_load_b128 v[68:71], v[2:3], off offset:400
	v_sub_nc_u16 v12, v20, v11
	v_and_b32_e32 v11, 0xffff, v4
	v_mul_u32_u24_e32 v4, 0x8889, v7
	v_lshlrev_b32_e32 v5, 3, v5
	v_cmp_lt_u32_e64 s0, 59, v14
	v_and_b32_e32 v84, 0xff, v12
	v_mul_u32_u24_e32 v12, 5, v11
	v_lshrrev_b32_e32 v7, 21, v4
	s_clause 0x1
	global_load_b128 v[73:76], v5, s[8:9] offset:400
	global_load_b64 v[140:141], v5, s[8:9] offset:432
	v_mul_u32_u24_e32 v4, 5, v84
	v_lshlrev_b32_e32 v81, 3, v12
	v_mul_lo_u16 v12, v7, 60
	v_mul_u32_u24_e32 v6, 0xb40, v6
	v_mul_u32_u24_e32 v0, 0xb40, v0
	v_lshlrev_b32_e32 v4, 3, v4
	global_load_b128 v[77:80], v81, s[8:9] offset:400
	v_sub_nc_u16 v12, v44, v12
	global_load_b64 v[142:143], v81, s[8:9] offset:432
	v_mul_u32_u24_e32 v7, 0xb40, v7
	global_load_b64 v[138:139], v4, s[8:9] offset:432
	v_and_b32_e32 v72, 0xffff, v72
	v_and_b32_e32 v12, 0xffff, v12
	v_lshlrev_b32_e32 v84, 3, v84
	s_delay_alu instid0(VALU_DEP_3) | instskip(NEXT) | instid1(VALU_DEP_3)
	v_mul_u32_u24_e32 v72, 0xb40, v72
	v_mul_u32_u24_e32 v82, 5, v12
	v_lshlrev_b32_e32 v12, 3, v12
	s_delay_alu instid0(VALU_DEP_3) | instskip(NEXT) | instid1(VALU_DEP_3)
	v_add3_u32 v72, 0, v72, v84
	v_lshlrev_b32_e32 v82, 3, v82
	s_clause 0x8
	global_load_b64 v[144:145], v82, s[8:9] offset:432
	global_load_b64 v[146:147], v[2:3], off offset:432
	global_load_b128 v[92:95], v82, s[8:9] offset:416
	global_load_b128 v[98:101], v81, s[8:9] offset:416
	;; [unrolled: 1-line block ×4, first 2 shown]
	global_load_b128 v[110:113], v[2:3], off offset:416
	global_load_b128 v[114:117], v82, s[8:9] offset:400
	global_load_b128 v[118:121], v4, s[8:9] offset:400
	ds_load_b64 v[81:82], v59
	ds_load_b64 v[85:86], v55
	ds_load_2addr_b64 v[122:125], v8 offset0:32 offset1:128
	ds_load_2addr_b64 v[126:129], v67 offset0:128 offset1:224
	ds_load_b64 v[4:5], v61
	ds_load_b64 v[2:3], v60
	ds_load_2addr_b64 v[130:133], v54 offset0:64 offset1:160
	ds_load_2addr_b64 v[134:137], v53 offset0:128 offset1:224
	s_wait_loadcnt_dscnt 0xe07
	v_mul_f32_e32 v67, v69, v82
	s_wait_dscnt 0x6
	v_dual_mul_f32 v148, v69, v81 :: v_dual_mul_f32 v69, v71, v86
	v_mul_f32_e32 v149, v71, v85
	s_delay_alu instid0(VALU_DEP_3) | instskip(NEXT) | instid1(VALU_DEP_3)
	v_fma_f32 v150, v68, v81, -v67
	v_fmac_f32_e32 v148, v68, v82
	s_delay_alu instid0(VALU_DEP_4) | instskip(NEXT) | instid1(VALU_DEP_4)
	v_fma_f32 v151, v70, v85, -v69
	v_fmac_f32_e32 v149, v70, v86
	s_wait_loadcnt_dscnt 0xd05
	v_mul_f32_e32 v67, v123, v74
	s_wait_dscnt 0x4
	v_dual_mul_f32 v85, v122, v74 :: v_dual_mul_f32 v68, v127, v76
	s_wait_loadcnt_dscnt 0xc01
	v_dual_mul_f32 v90, v126, v76 :: v_dual_mul_f32 v89, v132, v141
	v_fma_f32 v88, v122, v73, -v67
	s_delay_alu instid0(VALU_DEP_3)
	v_fmac_f32_e32 v85, v123, v73
	v_fma_f32 v87, v126, v75, -v68
	s_wait_loadcnt 0xb
	v_mul_f32_e32 v67, v125, v78
	v_dual_mul_f32 v73, v124, v78 :: v_dual_mul_f32 v68, v129, v80
	v_mul_f32_e32 v78, v128, v80
	ds_load_2addr_b64 v[80:83], v50 offset1:96
	v_fmac_f32_e32 v90, v127, v75
	s_wait_loadcnt 0x9
	v_mul_f32_e32 v69, v131, v139
	v_fma_f32 v76, v124, v77, -v67
	v_fmac_f32_e32 v73, v125, v77
	v_fma_f32 v75, v128, v79, -v68
	v_fmac_f32_e32 v78, v129, v79
	v_dual_mul_f32 v96, v130, v139 :: v_dual_mul_f32 v67, v133, v141
	ds_load_2addr_b64 v[122:125], v66 offset0:64 offset1:160
	ds_load_2addr_b64 v[126:129], v56 offset0:64 offset1:160
	v_fma_f32 v97, v130, v138, -v69
	s_wait_dscnt 0x3
	v_mul_f32_e32 v68, v135, v143
	v_mul_f32_e32 v74, v134, v143
	v_fmac_f32_e32 v96, v131, v138
	v_fma_f32 v91, v132, v140, -v67
	v_fmac_f32_e32 v89, v133, v140
	s_wait_loadcnt 0x8
	v_mul_f32_e32 v67, v137, v145
	v_mul_f32_e32 v66, v136, v145
	ds_load_2addr_b64 v[130:133], v52 offset1:96
	v_fma_f32 v77, v134, v142, -v68
	v_fmac_f32_e32 v74, v135, v142
	s_wait_loadcnt_dscnt 0x703
	v_mul_f32_e32 v68, v83, v147
	s_wait_loadcnt 0x6
	v_mul_f32_e32 v69, v81, v95
	v_fma_f32 v67, v136, v144, -v67
	v_fmac_f32_e32 v66, v137, v144
	ds_load_2addr_b64 v[134:137], v51 offset0:128 offset1:224
	v_fma_f32 v139, v82, v146, -v68
	v_fma_f32 v68, v80, v94, -v69
	v_mul_f32_e32 v69, v80, v95
	s_wait_dscnt 0x3
	v_mul_f32_e32 v71, v125, v93
	v_mul_f32_e32 v70, v124, v93
	;; [unrolled: 1-line block ×3, first 2 shown]
	s_wait_loadcnt 0x5
	v_mul_f32_e32 v79, v123, v99
	v_fmac_f32_e32 v69, v81, v94
	s_wait_loadcnt_dscnt 0x402
	v_mul_f32_e32 v81, v127, v105
	v_fma_f32 v71, v124, v92, -v71
	v_fmac_f32_e32 v70, v125, v92
	v_mul_f32_e32 v80, v128, v101
	v_mul_f32_e32 v92, v126, v105
	v_fma_f32 v93, v126, v104, -v81
	s_wait_loadcnt_dscnt 0x301
	v_mul_f32_e32 v126, v130, v107
	v_fmac_f32_e32 v138, v83, v146
	v_fma_f32 v86, v122, v98, -v79
	v_mul_f32_e32 v79, v129, v101
	v_fmac_f32_e32 v80, v129, v100
	v_dual_fmac_f32 v126, v131, v106 :: v_dual_mul_f32 v83, v122, v99
	s_wait_dscnt 0x0
	v_mul_f32_e32 v129, v136, v109
	v_fma_f32 v82, v128, v100, -v79
	v_mul_f32_e32 v94, v132, v103
	v_fmac_f32_e32 v92, v127, v104
	s_delay_alu instid0(VALU_DEP_4)
	v_fmac_f32_e32 v129, v137, v108
	v_fmac_f32_e32 v83, v123, v98
	ds_load_2addr_b64 v[122:125], v65 offset0:64 offset1:160
	v_mul_f32_e32 v65, v133, v103
	ds_load_2addr_stride64_b64 v[98:101], v9 offset0:13 offset1:16
	v_mul_f32_e32 v9, v137, v109
	v_fmac_f32_e32 v94, v133, v102
	v_fma_f32 v95, v132, v102, -v65
	ds_load_2addr_stride64_b64 v[102:105], v48 offset1:9
	v_fma_f32 v128, v136, v108, -v9
	v_mul_f32_e32 v79, v131, v107
	s_wait_loadcnt 0x2
	v_mul_f32_e32 v9, v135, v113
	s_delay_alu instid0(VALU_DEP_2) | instskip(SKIP_1) | instid1(VALU_DEP_3)
	v_fma_f32 v127, v130, v106, -v79
	v_mul_f32_e32 v106, v134, v113
	v_fma_f32 v108, v134, v112, -v9
	s_wait_dscnt 0x2
	v_mul_f32_e32 v65, v111, v125
	v_mul_f32_e32 v107, v111, v124
	s_wait_loadcnt_dscnt 0x101
	v_dual_fmac_f32 v106, v135, v112 :: v_dual_mul_f32 v9, v98, v115
	v_mul_f32_e32 v81, v122, v117
	v_fma_f32 v109, v110, v124, -v65
	v_fmac_f32_e32 v107, v110, v125
	s_wait_loadcnt 0x0
	v_mul_f32_e32 v110, v101, v121
	v_sub_f32_e32 v125, v127, v97
	v_mul_f32_e32 v79, v99, v115
	v_fmac_f32_e32 v9, v99, v114
	v_mul_f32_e32 v115, v100, v121
	v_mul_f32_e32 v65, v123, v117
	v_fmac_f32_e32 v81, v123, v116
	v_fma_f32 v79, v98, v114, -v79
	v_fma_f32 v114, v100, v120, -v110
	s_wait_dscnt 0x0
	v_mul_f32_e32 v98, v105, v119
	v_add_f32_e32 v100, v149, v106
	v_fma_f32 v65, v122, v116, -v65
	v_dual_mul_f32 v116, v104, v119 :: v_dual_add_f32 v99, v151, v108
	s_delay_alu instid0(VALU_DEP_4) | instskip(SKIP_4) | instid1(VALU_DEP_4)
	v_fma_f32 v117, v104, v118, -v98
	v_add_f32_e32 v98, v107, v138
	v_fma_f32 v113, -0.5, v100, v103
	v_add_f32_e32 v100, v109, v139
	v_fmac_f32_e32 v115, v101, v120
	v_dual_add_f32 v101, v148, v107 :: v_dual_fmac_f32 v148, -0.5, v98
	v_add_f32_e32 v98, v150, v109
	s_delay_alu instid0(VALU_DEP_4)
	v_fmac_f32_e32 v150, -0.5, v100
	v_sub_f32_e32 v104, v107, v138
	v_fma_f32 v112, -0.5, v99, v102
	v_add_f32_e32 v99, v103, v149
	v_sub_f32_e32 v103, v109, v139
	v_add_f32_e32 v100, v102, v151
	v_fmamk_f32 v102, v104, 0x3f5db3d7, v150
	v_fmac_f32_e32 v116, v105, v118
	v_dual_add_f32 v109, v99, v106 :: v_dual_fmac_f32 v150, 0xbf5db3d7, v104
	v_add_f32_e32 v110, v98, v139
	s_delay_alu instid0(VALU_DEP_4) | instskip(SKIP_3) | instid1(VALU_DEP_3)
	v_dual_mul_f32 v118, 0xbf5db3d7, v102 :: v_dual_fmamk_f32 v99, v103, 0xbf5db3d7, v148
	v_dual_fmac_f32 v148, 0x3f5db3d7, v103 :: v_dual_add_f32 v119, v101, v138
	s_wait_alu 0xf1ff
	v_cndmask_b32_e64 v98, 0, 0xb40, s0
	v_dual_mul_f32 v122, -0.5, v150 :: v_dual_mul_f32 v111, 0x3f5db3d7, v99
	v_dual_fmac_f32 v118, 0.5, v99 :: v_dual_sub_f32 v107, v149, v106
	v_add_f32_e32 v106, v100, v108
	v_sub_f32_e32 v108, v151, v108
	v_mul_f32_e32 v123, -0.5, v148
	v_fmac_f32_e32 v111, 0.5, v102
	ds_load_b64 v[102:103], v64
	ds_load_b64 v[104:105], v63
	v_dual_fmamk_f32 v120, v107, 0x3f5db3d7, v112 :: v_dual_lshlrev_b32 v13, 3, v13
	v_fmamk_f32 v121, v108, 0xbf5db3d7, v113
	v_fmac_f32_e32 v113, 0x3f5db3d7, v108
	v_fmac_f32_e32 v123, 0xbf5db3d7, v150
	s_delay_alu instid0(VALU_DEP_4)
	v_add3_u32 v13, 0, v98, v13
	v_dual_add_f32 v98, v106, v110 :: v_dual_add_f32 v99, v109, v119
	v_dual_add_f32 v100, v120, v111 :: v_dual_add_f32 v101, v121, v118
	v_fmac_f32_e32 v112, 0xbf5db3d7, v107
	v_dual_sub_f32 v106, v106, v110 :: v_dual_sub_f32 v107, v109, v119
	v_add_f32_e32 v109, v113, v123
	v_dual_sub_f32 v110, v120, v111 :: v_dual_sub_f32 v111, v121, v118
	v_sub_f32_e32 v113, v113, v123
	v_add_f32_e32 v121, v126, v96
	v_dual_add_f32 v123, v127, v97 :: v_dual_fmac_f32 v122, 0x3f5db3d7, v148
	v_dual_add_f32 v124, v116, v126 :: v_dual_add_f32 v119, v115, v129
	s_delay_alu instid0(VALU_DEP_3) | instskip(NEXT) | instid1(VALU_DEP_3)
	v_dual_fmac_f32 v116, -0.5, v121 :: v_dual_add_f32 v121, v117, v127
	v_fmac_f32_e32 v117, -0.5, v123
	s_delay_alu instid0(VALU_DEP_4)
	v_dual_sub_f32 v123, v126, v96 :: v_dual_add_f32 v108, v112, v122
	v_sub_f32_e32 v112, v112, v122
	s_wait_dscnt 0x1
	v_add_f32_e32 v122, v102, v114
	v_add_f32_e32 v118, v103, v115
	v_fmamk_f32 v127, v123, 0x3f5db3d7, v117
	v_fmac_f32_e32 v117, 0xbf5db3d7, v123
	v_fmac_f32_e32 v103, -0.5, v119
	v_add_f32_e32 v119, v122, v128
	v_add_f32_e32 v122, v114, v128
	v_fmamk_f32 v126, v125, 0xbf5db3d7, v116
	v_add_f32_e32 v121, v121, v97
	v_fmac_f32_e32 v116, 0x3f5db3d7, v125
	v_dual_mul_f32 v123, -0.5, v117 :: v_dual_sub_f32 v128, v114, v128
	v_mul_f32_e32 v130, 0xbf5db3d7, v127
	v_add_f32_e32 v124, v124, v96
	v_fma_f32 v102, -0.5, v122, v102
	v_add_f32_e32 v96, v119, v121
	v_dual_add_f32 v118, v118, v129 :: v_dual_mul_f32 v125, -0.5, v116
	v_dual_fmac_f32 v123, 0x3f5db3d7, v116 :: v_dual_sub_f32 v116, v119, v121
	v_sub_f32_e32 v115, v115, v129
	v_mul_f32_e32 v129, 0x3f5db3d7, v126
	v_fmac_f32_e32 v130, 0.5, v126
	v_fmamk_f32 v122, v128, 0xbf5db3d7, v103
	s_delay_alu instid0(VALU_DEP_4) | instskip(NEXT) | instid1(VALU_DEP_4)
	v_dual_fmac_f32 v103, 0x3f5db3d7, v128 :: v_dual_fmamk_f32 v84, v115, 0x3f5db3d7, v102
	v_fmac_f32_e32 v129, 0.5, v127
	v_dual_fmac_f32 v102, 0xbf5db3d7, v115 :: v_dual_fmac_f32 v125, 0xbf5db3d7, v117
	v_dual_add_f32 v97, v118, v124 :: v_dual_add_nc_u32 v120, 0x400, v13
	s_delay_alu instid0(VALU_DEP_3) | instskip(SKIP_1) | instid1(VALU_DEP_4)
	v_dual_add_f32 v114, v84, v129 :: v_dual_add_f32 v115, v122, v130
	v_sub_f32_e32 v117, v118, v124
	v_dual_add_f32 v118, v102, v123 :: v_dual_add_f32 v119, v103, v125
	global_wb scope:SCOPE_SE
	s_wait_dscnt 0x0
	s_barrier_signal -1
	s_barrier_wait -1
	global_inv scope:SCOPE_SE
	ds_store_2addr_b64 v13, v[98:99], v[100:101] offset1:60
	ds_store_2addr_b64 v13, v[108:109], v[106:107] offset0:120 offset1:180
	ds_store_2addr_b64 v120, v[110:111], v[112:113] offset0:112 offset1:172
	ds_store_2addr_b64 v72, v[96:97], v[114:115] offset1:60
	ds_store_2addr_b64 v72, v[118:119], v[116:117] offset0:120 offset1:180
	v_add_f32_e32 v100, v94, v89
	v_dual_sub_f32 v97, v103, v125 :: v_dual_sub_f32 v96, v102, v123
	v_add_f32_e32 v102, v95, v91
	v_dual_add_f32 v103, v88, v95 :: v_dual_add_f32 v106, v85, v94
	s_delay_alu instid0(VALU_DEP_4) | instskip(SKIP_4) | instid1(VALU_DEP_4)
	v_fmac_f32_e32 v85, -0.5, v100
	v_dual_sub_f32 v95, v95, v91 :: v_dual_sub_f32 v98, v84, v129
	v_sub_f32_e32 v99, v122, v130
	v_fmac_f32_e32 v88, -0.5, v102
	v_sub_f32_e32 v94, v94, v89
	v_fmamk_f32 v100, v95, 0xbf5db3d7, v85
	v_add_nc_u32_e32 v72, 0x400, v72
	v_add_f32_e32 v101, v90, v92
	v_fmac_f32_e32 v85, 0x3f5db3d7, v95
	v_fmamk_f32 v95, v94, 0x3f5db3d7, v88
	v_sub_f32_e32 v84, v90, v92
	ds_store_2addr_b64 v72, v[98:99], v[96:97] offset0:112 offset1:172
	v_mul_f32_e32 v96, 0x3f5db3d7, v100
	v_dual_add_f32 v90, v105, v90 :: v_dual_fmac_f32 v105, -0.5, v101
	v_fmac_f32_e32 v88, 0xbf5db3d7, v94
	v_sub_f32_e32 v94, v87, v93
	v_mul_f32_e32 v101, -0.5, v85
	v_mul_f32_e32 v97, 0xbf5db3d7, v95
	v_dual_fmac_f32 v96, 0.5, v95 :: v_dual_sub_f32 v95, v78, v80
	v_add_f32_e32 v98, v78, v80
	v_dual_add_f32 v78, v5, v78 :: v_dual_mul_f32 v107, -0.5, v88
	v_fmamk_f32 v108, v94, 0xbf5db3d7, v105
	v_fmac_f32_e32 v105, 0x3f5db3d7, v94
	v_fmac_f32_e32 v101, 0xbf5db3d7, v88
	s_delay_alu instid0(VALU_DEP_4) | instskip(SKIP_2) | instid1(VALU_DEP_4)
	v_dual_add_f32 v80, v78, v80 :: v_dual_add_f32 v13, v87, v93
	v_add_f32_e32 v87, v104, v87
	v_fmac_f32_e32 v107, 0x3f5db3d7, v85
	v_add_f32_e32 v85, v105, v101
	v_dual_sub_f32 v88, v105, v101 :: v_dual_add_f32 v91, v103, v91
	s_delay_alu instid0(VALU_DEP_4) | instskip(SKIP_3) | instid1(VALU_DEP_4)
	v_dual_add_f32 v72, v87, v93 :: v_dual_add_f32 v101, v73, v83
	v_add_f32_e32 v93, v106, v89
	v_add_f32_e32 v99, v86, v77
	v_fmac_f32_e32 v97, 0.5, v100
	v_add_f32_e32 v89, v72, v91
	v_dual_sub_f32 v91, v72, v91 :: v_dual_add_f32 v72, v83, v74
	v_sub_f32_e32 v83, v83, v74
	v_add_f32_e32 v74, v101, v74
	v_add_f32_e32 v100, v76, v86
	v_fmac_f32_e32 v76, -0.5, v99
	v_add_f32_e32 v92, v90, v92
	s_delay_alu instid0(VALU_DEP_4) | instskip(SKIP_4) | instid1(VALU_DEP_4)
	v_dual_fmac_f32 v73, -0.5, v72 :: v_dual_add_f32 v78, v80, v74
	v_fma_f32 v13, -0.5, v13, v104
	v_dual_sub_f32 v72, v86, v77 :: v_dual_fmac_f32 v5, -0.5, v98
	v_fmamk_f32 v98, v83, 0x3f5db3d7, v76
	v_fmac_f32_e32 v76, 0xbf5db3d7, v83
	v_fmamk_f32 v102, v84, 0x3f5db3d7, v13
	v_dual_fmac_f32 v13, 0xbf5db3d7, v84 :: v_dual_add_f32 v90, v92, v93
	v_sub_f32_e32 v92, v92, v93
	s_delay_alu instid0(VALU_DEP_3) | instskip(NEXT) | instid1(VALU_DEP_3)
	v_dual_fmamk_f32 v86, v72, 0xbf5db3d7, v73 :: v_dual_add_f32 v93, v102, v96
	v_add_f32_e32 v84, v13, v107
	v_sub_f32_e32 v87, v13, v107
	v_add_f32_e32 v13, v75, v82
	v_fmac_f32_e32 v73, 0x3f5db3d7, v72
	v_sub_f32_e32 v72, v102, v96
	v_mul_f32_e32 v102, -0.5, v76
	v_add_f32_e32 v94, v108, v97
	v_fma_f32 v13, -0.5, v13, v4
	v_dual_sub_f32 v83, v75, v82 :: v_dual_mul_f32 v96, -0.5, v73
	s_delay_alu instid0(VALU_DEP_4)
	v_fmac_f32_e32 v102, 0x3f5db3d7, v73
	v_add_f32_e32 v4, v4, v75
	v_sub_f32_e32 v73, v108, v97
	v_mul_f32_e32 v97, 0x3f5db3d7, v86
	v_fmamk_f32 v99, v95, 0x3f5db3d7, v13
	v_fmamk_f32 v103, v83, 0xbf5db3d7, v5
	v_fmac_f32_e32 v5, 0x3f5db3d7, v83
	v_dual_fmac_f32 v13, 0xbf5db3d7, v95 :: v_dual_add_f32 v82, v4, v82
	v_dual_add_f32 v83, v100, v77 :: v_dual_mul_f32 v100, 0xbf5db3d7, v98
	v_dual_fmac_f32 v97, 0.5, v98 :: v_dual_add_f32 v98, v71, v67
	s_delay_alu instid0(VALU_DEP_3) | instskip(NEXT) | instid1(VALU_DEP_3)
	v_add_f32_e32 v75, v13, v102
	v_dual_sub_f32 v4, v13, v102 :: v_dual_add_f32 v77, v82, v83
	v_dual_sub_f32 v82, v82, v83 :: v_dual_sub_f32 v83, v80, v74
	v_dual_add_f32 v80, v70, v66 :: v_dual_add_f32 v101, v79, v71
	v_add_f32_e32 v102, v9, v70
	v_fmac_f32_e32 v79, -0.5, v98
	v_sub_f32_e32 v70, v70, v66
	v_dual_fmac_f32 v100, 0.5, v86 :: v_dual_add_f32 v13, v65, v68
	v_dual_add_f32 v86, v81, v69 :: v_dual_fmac_f32 v9, -0.5, v80
	s_delay_alu instid0(VALU_DEP_3) | instskip(SKIP_1) | instid1(VALU_DEP_4)
	v_dual_sub_f32 v71, v71, v67 :: v_dual_fmamk_f32 v98, v70, 0x3f5db3d7, v79
	v_fmac_f32_e32 v79, 0xbf5db3d7, v70
	v_fma_f32 v13, -0.5, v13, v2
	v_sub_f32_e32 v74, v81, v69
	v_add_f32_e32 v81, v3, v81
	v_fmac_f32_e32 v3, -0.5, v86
	v_fmamk_f32 v86, v71, 0xbf5db3d7, v9
	v_fmac_f32_e32 v9, 0x3f5db3d7, v71
	v_mul_f32_e32 v104, -0.5, v79
	v_add_f32_e32 v2, v2, v65
	v_add_f32_e32 v95, v99, v97
	v_dual_sub_f32 v71, v65, v68 :: v_dual_sub_f32 v70, v99, v97
	v_mul_f32_e32 v97, -0.5, v9
	v_fmamk_f32 v99, v74, 0x3f5db3d7, v13
	v_fmac_f32_e32 v13, 0xbf5db3d7, v74
	v_dual_fmac_f32 v104, 0x3f5db3d7, v9 :: v_dual_add_f32 v9, v2, v68
	v_add_f32_e32 v68, v81, v69
	v_dual_add_f32 v74, v102, v66 :: v_dual_fmac_f32 v97, 0xbf5db3d7, v79
	s_delay_alu instid0(VALU_DEP_3) | instskip(SKIP_1) | instid1(VALU_DEP_3)
	v_add_f32_e32 v79, v13, v104
	v_dual_sub_f32 v2, v13, v104 :: v_dual_mul_f32 v13, 0xbf5db3d7, v98
	v_add_f32_e32 v66, v68, v74
	v_sub_f32_e32 v68, v68, v74
	v_lshlrev_b32_e32 v74, 3, v10
	v_dual_fmac_f32 v96, 0xbf5db3d7, v76 :: v_dual_lshlrev_b32 v11, 3, v11
	v_fmamk_f32 v105, v71, 0xbf5db3d7, v3
	v_mul_f32_e32 v69, 0x3f5db3d7, v86
	v_fmac_f32_e32 v13, 0.5, v86
	v_add3_u32 v6, 0, v6, v74
	v_add3_u32 v0, 0, v0, v11
	v_add_f32_e32 v76, v5, v96
	v_sub_f32_e32 v5, v5, v96
	v_fmac_f32_e32 v3, 0x3f5db3d7, v71
	v_sub_f32_e32 v71, v103, v100
	v_add_f32_e32 v67, v101, v67
	v_dual_fmac_f32 v69, 0.5, v98 :: v_dual_sub_f32 v98, v105, v13
	v_add_nc_u32_e32 v11, 0x400, v6
	ds_store_2addr_b64 v6, v[89:90], v[93:94] offset1:60
	ds_store_2addr_b64 v6, v[84:85], v[91:92] offset0:120 offset1:180
	v_add3_u32 v6, 0, v7, v12
	v_add_nc_u32_e32 v7, 0x400, v0
	v_dual_add_f32 v96, v103, v100 :: v_dual_add_f32 v65, v9, v67
	v_sub_f32_e32 v67, v9, v67
	v_add_f32_e32 v9, v99, v69
	v_add_f32_e32 v10, v105, v13
	ds_store_2addr_b64 v11, v[72:73], v[87:88] offset0:112 offset1:172
	ds_store_2addr_b64 v0, v[77:78], v[95:96] offset1:60
	ds_store_2addr_b64 v0, v[75:76], v[82:83] offset0:120 offset1:180
	ds_store_2addr_b64 v7, v[70:71], v[4:5] offset0:112 offset1:172
	v_lshlrev_b64_e32 v[4:5], 3, v[14:15]
	v_add_f32_e32 v80, v3, v97
	v_sub_f32_e32 v3, v3, v97
	v_dual_sub_f32 v97, v99, v69 :: v_dual_add_nc_u32 v0, 0x400, v6
	ds_store_2addr_b64 v6, v[65:66], v[9:10] offset1:60
	ds_store_2addr_b64 v6, v[79:80], v[67:68] offset0:120 offset1:180
	ds_store_2addr_b64 v0, v[97:98], v[2:3] offset0:112 offset1:172
	v_and_b32_e32 v6, 0xffff, v38
	v_add_co_u32 v2, s0, s8, v4
	s_wait_alu 0xf1ff
	v_add_co_ci_u32_e64 v3, s0, s9, v5, s0
	v_add_nc_u32_e32 v0, 0xffffffb8, v14
	v_cmp_gt_u32_e64 s0, 0x48, v14
	v_mul_u32_u24_e32 v9, 0x2d83, v6
	v_lshlrev_b64_e32 v[4:5], 3, v[20:21]
	v_lshlrev_b64_e32 v[10:11], 3, v[22:23]
	v_and_b32_e32 v15, 0xffff, v36
	s_wait_alu 0xf1ff
	v_cndmask_b32_e64 v0, v0, v46, s0
	v_lshrrev_b32_e32 v9, 22, v9
	global_wb scope:SCOPE_SE
	s_wait_dscnt 0x0
	v_add_co_u32 v6, s0, s8, v4
	v_lshlrev_b64_e32 v[12:13], 3, v[0:1]
	v_mul_lo_u16 v21, 0x168, v9
	s_wait_alu 0xf1ff
	v_add_co_ci_u32_e64 v7, s0, s9, v5, s0
	v_add_co_u32 v4, s0, s8, v10
	s_wait_alu 0xf1ff
	v_add_co_ci_u32_e64 v5, s0, s9, v11, s0
	v_add_co_u32 v10, s0, s8, v12
	v_sub_nc_u16 v12, v38, v21
	s_wait_alu 0xf1ff
	v_add_co_ci_u32_e64 v11, s0, s9, v13, s0
	v_and_b32_e32 v13, 0xffff, v34
	v_and_b32_e32 v21, 0xffff, v30
	;; [unrolled: 1-line block ×3, first 2 shown]
	v_mul_u32_u24_e32 v15, 0x2d83, v15
	s_barrier_signal -1
	v_mul_u32_u24_e32 v13, 0x2d83, v13
	s_barrier_wait -1
	v_lshlrev_b32_e32 v23, 3, v12
	v_mul_u32_u24_e32 v12, 0x2d83, v21
	global_inv scope:SCOPE_SE
	global_load_b64 v[69:70], v[2:3], off offset:2800
	v_lshrrev_b32_e32 v15, 22, v15
	s_clause 0x2
	global_load_b64 v[86:87], v[6:7], off offset:2800
	global_load_b64 v[88:89], v[4:5], off offset:2800
	;; [unrolled: 1-line block ×3, first 2 shown]
	v_lshrrev_b32_e32 v10, 22, v13
	v_lshrrev_b32_e32 v12, 22, v12
	v_mul_lo_u16 v15, 0x168, v15
	s_clause 0x3
	global_load_b64 v[92:93], v[2:3], off offset:2992
	global_load_b64 v[94:95], v[2:3], off offset:3760
	;; [unrolled: 1-line block ×3, first 2 shown]
	global_load_b64 v[98:99], v23, s[8:9] offset:2800
	v_mul_lo_u16 v10, 0x168, v10
	v_mul_lo_u16 v12, 0x168, v12
	v_sub_nc_u16 v11, v36, v15
	v_and_b32_e32 v15, 0xffff, v28
	v_add_nc_u32_e32 v72, 0x2c00, v48
	v_sub_nc_u16 v10, v34, v10
	v_sub_nc_u16 v12, v30, v12
	v_and_b32_e32 v11, 0xffff, v11
	v_mul_u32_u24_e32 v15, 0x2d83, v15
	v_add_nc_u32_e32 v73, 0x3c00, v48
	v_and_b32_e32 v10, 0xffff, v10
	v_and_b32_e32 v12, 0xffff, v12
	v_lshlrev_b32_e32 v114, 3, v11
	v_add_nc_u32_e32 v71, 0x4400, v48
	v_cmp_lt_u32_e64 s0, 0x47, v14
	v_lshlrev_b32_e32 v116, 3, v10
	v_lshlrev_b32_e32 v117, 3, v12
	global_load_b64 v[100:101], v114, s[8:9] offset:2800
	v_lshlrev_b32_e32 v0, 3, v0
	v_lshlrev_b64_e32 v[30:31], 3, v[30:31]
	s_clause 0x1
	global_load_b64 v[102:103], v116, s[8:9] offset:2800
	global_load_b64 v[104:105], v117, s[8:9] offset:2800
	v_and_b32_e32 v13, 0xffff, v32
	v_and_b32_e32 v11, 0xffff, v26
	s_delay_alu instid0(VALU_DEP_2) | instskip(NEXT) | instid1(VALU_DEP_2)
	v_mul_u32_u24_e32 v13, 0x2d83, v13
	v_mul_u32_u24_e32 v11, 0x2d83, v11
	s_delay_alu instid0(VALU_DEP_2) | instskip(SKIP_1) | instid1(VALU_DEP_3)
	v_lshrrev_b32_e32 v115, 22, v13
	v_lshrrev_b32_e32 v13, 22, v15
	;; [unrolled: 1-line block ×3, first 2 shown]
	s_delay_alu instid0(VALU_DEP_3) | instskip(NEXT) | instid1(VALU_DEP_3)
	v_mul_lo_u16 v15, 0x168, v115
	v_mul_lo_u16 v13, 0x168, v13
	s_delay_alu instid0(VALU_DEP_3) | instskip(NEXT) | instid1(VALU_DEP_3)
	v_mul_lo_u16 v10, 0x168, v11
	v_sub_nc_u16 v15, v32, v15
	s_delay_alu instid0(VALU_DEP_3) | instskip(NEXT) | instid1(VALU_DEP_3)
	v_sub_nc_u16 v11, v28, v13
	v_sub_nc_u16 v10, v26, v10
	s_delay_alu instid0(VALU_DEP_3) | instskip(NEXT) | instid1(VALU_DEP_3)
	v_and_b32_e32 v12, 0xffff, v15
	v_and_b32_e32 v11, 0xffff, v11
	s_delay_alu instid0(VALU_DEP_3) | instskip(NEXT) | instid1(VALU_DEP_3)
	v_and_b32_e32 v10, 0xffff, v10
	v_lshlrev_b32_e32 v118, 3, v12
	s_delay_alu instid0(VALU_DEP_3) | instskip(NEXT) | instid1(VALU_DEP_3)
	v_lshlrev_b32_e32 v119, 3, v11
	v_lshlrev_b32_e32 v120, 3, v10
	v_and_b32_e32 v10, 0xffff, v24
	s_clause 0x2
	global_load_b64 v[106:107], v118, s[8:9] offset:2800
	global_load_b64 v[108:109], v119, s[8:9] offset:2800
	;; [unrolled: 1-line block ×3, first 2 shown]
	v_mul_u32_u24_e32 v10, 0x2d83, v10
	s_delay_alu instid0(VALU_DEP_1) | instskip(NEXT) | instid1(VALU_DEP_1)
	v_lshrrev_b32_e32 v10, 22, v10
	v_mul_lo_u16 v10, 0x168, v10
	s_delay_alu instid0(VALU_DEP_1) | instskip(NEXT) | instid1(VALU_DEP_1)
	v_sub_nc_u16 v10, v24, v10
	v_and_b32_e32 v10, 0xffff, v10
	s_delay_alu instid0(VALU_DEP_1)
	v_lshlrev_b32_e32 v121, 3, v10
	global_load_b64 v[112:113], v121, s[8:9] offset:2800
	ds_load_2addr_b64 v[10:13], v72 offset0:32 offset1:128
	ds_load_2addr_b64 v[65:68], v52 offset0:96 offset1:192
	;; [unrolled: 1-line block ×5, first 2 shown]
	s_wait_loadcnt_dscnt 0xe04
	v_mul_f32_e32 v15, v70, v11
	s_wait_loadcnt 0xd
	v_dual_mul_f32 v21, v70, v10 :: v_dual_mul_f32 v70, v87, v13
	s_wait_loadcnt_dscnt 0xb03
	v_mul_f32_e32 v122, v67, v91
	v_fma_f32 v15, v69, v10, -v15
	s_delay_alu instid0(VALU_DEP_3) | instskip(SKIP_4) | instid1(VALU_DEP_4)
	v_fmac_f32_e32 v21, v69, v11
	v_dual_mul_f32 v69, v87, v12 :: v_dual_mul_f32 v10, v66, v89
	v_mul_f32_e32 v11, v68, v91
	v_fma_f32 v70, v86, v12, -v70
	v_mul_f32_e32 v89, v65, v89
	v_fmac_f32_e32 v69, v86, v13
	v_fma_f32 v91, v65, v88, -v10
	v_fma_f32 v123, v67, v90, -v11
	ds_load_2addr_b64 v[10:13], v50 offset0:96 offset1:192
	s_wait_loadcnt_dscnt 0xa03
	v_mul_f32_e32 v65, v75, v93
	v_fmac_f32_e32 v89, v66, v88
	v_mul_f32_e32 v124, v74, v93
	s_wait_loadcnt 0x9
	v_mul_f32_e32 v66, v77, v95
	v_mul_f32_e32 v125, v76, v95
	v_fma_f32 v126, v74, v92, -v65
	s_wait_loadcnt_dscnt 0x802
	v_mul_f32_e32 v65, v79, v97
	v_fmac_f32_e32 v124, v75, v92
	v_fma_f32 v127, v76, v94, -v66
	v_dual_fmac_f32 v125, v77, v94 :: v_dual_mul_f32 v128, v78, v97
	s_wait_loadcnt_dscnt 0x601
	v_dual_mul_f32 v74, v81, v99 :: v_dual_mul_f32 v75, v83, v101
	s_wait_loadcnt 0x5
	v_mul_f32_e32 v76, v85, v103
	v_fmac_f32_e32 v122, v68, v90
	v_fma_f32 v130, v78, v96, -v65
	ds_load_2addr_b64 v[65:68], v53 offset0:32 offset1:128
	v_fmac_f32_e32 v128, v79, v96
	v_fma_f32 v131, v80, v98, -v74
	s_wait_loadcnt_dscnt 0x401
	v_mul_f32_e32 v77, v11, v105
	v_fma_f32 v133, v82, v100, -v75
	ds_load_b64 v[74:75], v48
	v_fma_f32 v135, v84, v102, -v76
	v_mul_f32_e32 v137, v10, v105
	v_fma_f32 v136, v10, v104, -v77
	ds_load_b64 v[76:77], v64
	ds_load_b64 v[78:79], v63
	v_dual_mul_f32 v129, v80, v99 :: v_dual_mul_f32 v132, v82, v101
	v_dual_mul_f32 v134, v84, v103 :: v_dual_fmac_f32 v137, v11, v104
	s_delay_alu instid0(VALU_DEP_2) | instskip(NEXT) | instid1(VALU_DEP_2)
	v_dual_fmac_f32 v129, v81, v98 :: v_dual_fmac_f32 v132, v83, v100
	v_fmac_f32_e32 v134, v85, v102
	s_wait_dscnt 0x2
	v_sub_f32_e32 v84, v74, v15
	v_lshl_add_u32 v15, v24, 3, 0
	s_wait_dscnt 0x1
	v_sub_f32_e32 v86, v76, v70
	v_lshl_add_u32 v70, v40, 3, 0
	v_sub_f32_e32 v87, v77, v69
	v_lshl_add_u32 v69, v38, 3, 0
	s_wait_dscnt 0x0
	v_sub_f32_e32 v88, v78, v91
	v_fma_f32 v74, v74, 2.0, -v84
	s_wait_loadcnt 0x3
	v_mul_f32_e32 v10, v13, v107
	s_wait_loadcnt 0x2
	v_dual_mul_f32 v138, v12, v107 :: v_dual_mul_f32 v11, v66, v109
	s_wait_loadcnt 0x1
	v_mul_f32_e32 v85, v68, v111
	v_mul_f32_e32 v111, v67, v111
	v_fma_f32 v139, v12, v106, -v10
	v_fmac_f32_e32 v138, v13, v106
	v_fma_f32 v141, v65, v108, -v11
	ds_load_b64 v[10:11], v61
	ds_load_b64 v[12:13], v48 offset:22272
	ds_load_b64 v[80:81], v55
	ds_load_b64 v[82:83], v59
	;; [unrolled: 1-line block ×5, first 2 shown]
	v_fma_f32 v142, v67, v110, -v85
	v_sub_f32_e32 v85, v75, v21
	v_dual_mul_f32 v140, v65, v109 :: v_dual_fmac_f32 v111, v68, v110
	v_sub_f32_e32 v89, v79, v89
	v_lshl_add_u32 v68, v36, 3, 0
	s_delay_alu instid0(VALU_DEP_4)
	v_fma_f32 v75, v75, 2.0, -v85
	v_lshl_add_u32 v67, v34, 3, 0
	v_fmac_f32_e32 v140, v66, v108
	v_lshl_add_u32 v66, v32, 3, 0
	v_lshl_add_u32 v65, v28, 3, 0
	;; [unrolled: 1-line block ×3, first 2 shown]
	v_fma_f32 v76, v76, 2.0, -v86
	v_fma_f32 v77, v77, 2.0, -v87
	;; [unrolled: 1-line block ×4, first 2 shown]
	ds_load_b64 v[98:99], v68
	ds_load_b64 v[100:101], v67
	;; [unrolled: 1-line block ×6, first 2 shown]
	global_wb scope:SCOPE_SE
	s_wait_loadcnt_dscnt 0x0
	s_barrier_signal -1
	s_barrier_wait -1
	global_inv scope:SCOPE_SE
	ds_store_b64 v48, v[74:75]
	ds_store_b64 v48, v[84:85] offset:2880
	s_wait_alu 0xf1ff
	v_cndmask_b32_e64 v75, 0, 0x1680, s0
	v_dual_sub_f32 v96, v10, v123 :: v_dual_sub_f32 v97, v11, v122
	ds_store_b64 v64, v[76:77]
	ds_store_b64 v64, v[86:87] offset:2880
	v_sub_f32_e32 v74, v90, v126
	ds_store_b64 v63, v[78:79]
	ds_store_b64 v63, v[88:89] offset:2880
	v_add3_u32 v0, 0, v75, v0
	v_dual_sub_f32 v75, v91, v124 :: v_dual_sub_f32 v78, v82, v127
	v_dual_sub_f32 v79, v83, v125 :: v_dual_sub_f32 v84, v92, v130
	v_sub_f32_e32 v85, v93, v128
	v_fma_f32 v10, v10, 2.0, -v96
	v_fma_f32 v11, v11, 2.0, -v97
	;; [unrolled: 1-line block ×8, first 2 shown]
	v_add_nc_u32_e32 v88, 0x2400, v48
	ds_store_b64 v0, v[10:11]
	ds_store_b64 v0, v[96:97] offset:2880
	ds_store_2addr_b64 v8, v[76:77], v[82:83] offset0:104 offset1:200
	ds_store_2addr_b64 v62, v[86:87], v[74:75] offset0:40 offset1:208
	;; [unrolled: 1-line block ×3, first 2 shown]
	v_dual_sub_f32 v10, v94, v131 :: v_dual_sub_f32 v11, v95, v129
	v_mul_u32_u24_e32 v0, 0x1680, v9
	v_mul_f32_e32 v62, v13, v113
	v_mul_f32_e32 v83, v12, v113
	v_dual_sub_f32 v74, v98, v133 :: v_dual_sub_f32 v75, v99, v132
	v_fma_f32 v8, v94, 2.0, -v10
	v_fma_f32 v9, v95, 2.0, -v11
	v_add3_u32 v0, 0, v0, v23
	v_dual_sub_f32 v76, v100, v135 :: v_dual_sub_f32 v77, v101, v134
	v_fma_f32 v23, v12, v112, -v62
	v_fmac_f32_e32 v83, v13, v112
	v_fma_f32 v12, v98, 2.0, -v74
	v_fma_f32 v13, v99, 2.0, -v75
	v_add_nc_u32_e32 v62, 0, v114
	ds_store_b64 v0, v[8:9]
	ds_store_b64 v0, v[10:11] offset:2880
	v_dual_sub_f32 v10, v80, v136 :: v_dual_sub_f32 v11, v81, v137
	v_fma_f32 v8, v100, 2.0, -v76
	v_fma_f32 v9, v101, 2.0, -v77
	v_add_nc_u32_e32 v0, 0, v116
	ds_store_b64 v62, v[12:13] offset:11520
	ds_store_b64 v62, v[74:75] offset:14400
	;; [unrolled: 1-line block ×4, first 2 shown]
	v_dual_sub_f32 v12, v102, v139 :: v_dual_sub_f32 v13, v103, v138
	v_mul_u32_u24_e32 v0, 0x1680, v115
	v_fma_f32 v8, v80, 2.0, -v10
	v_fma_f32 v9, v81, 2.0, -v11
	v_dual_sub_f32 v74, v104, v141 :: v_dual_sub_f32 v75, v105, v140
	v_dual_sub_f32 v84, v108, v23 :: v_dual_add_nc_u32 v23, 0, v117
	v_dual_sub_f32 v78, v106, v142 :: v_dual_sub_f32 v79, v107, v111
	v_fma_f32 v76, v102, 2.0, -v12
	v_fma_f32 v77, v103, 2.0, -v13
	v_sub_f32_e32 v85, v109, v83
	v_add3_u32 v0, 0, v0, v118
	v_fma_f32 v80, v104, 2.0, -v74
	v_fma_f32 v81, v105, 2.0, -v75
	ds_store_b64 v23, v[8:9] offset:11520
	ds_store_b64 v23, v[10:11] offset:14400
	v_add_nc_u32_e32 v8, 0, v119
	v_fma_f32 v82, v106, 2.0, -v78
	v_fma_f32 v83, v107, 2.0, -v79
	v_add_nc_u32_e32 v9, 0, v120
	v_fma_f32 v86, v108, 2.0, -v84
	v_fma_f32 v87, v109, 2.0, -v85
	ds_store_b64 v0, v[76:77]
	ds_store_b64 v0, v[12:13] offset:2880
	v_add_nc_u32_e32 v0, 0, v121
	ds_store_b64 v8, v[80:81] offset:17280
	ds_store_b64 v8, v[74:75] offset:20160
	ds_store_b64 v9, v[82:83] offset:17280
	ds_store_b64 v9, v[78:79] offset:20160
	ds_store_b64 v0, v[86:87] offset:17280
	ds_store_b64 v0, v[84:85] offset:20160
	v_lshlrev_b64_e32 v[8:9], 3, v[46:47]
	v_lshlrev_b64_e32 v[12:13], 3, v[44:45]
	v_subrev_nc_u32_e32 v0, 48, v14
	global_wb scope:SCOPE_SE
	s_wait_dscnt 0x0
	s_barrier_signal -1
	s_barrier_wait -1
	v_add_co_u32 v10, s0, s8, v8
	s_wait_alu 0xf1ff
	v_add_co_ci_u32_e64 v11, s0, s9, v9, s0
	v_add_co_u32 v8, s0, s8, v12
	s_wait_alu 0xf1ff
	v_add_co_ci_u32_e64 v9, s0, s9, v13, s0
	v_lshlrev_b64_e32 v[12:13], 3, v[42:43]
	v_lshlrev_b64_e32 v[42:43], 3, v[40:41]
	global_inv scope:SCOPE_SE
	s_clause 0x4
	global_load_b64 v[46:47], v[2:3], off offset:5680
	global_load_b64 v[86:87], v[6:7], off offset:5680
	;; [unrolled: 1-line block ×5, first 2 shown]
	v_lshlrev_b64_e32 v[36:37], 3, v[36:37]
	v_add_co_u32 v40, s0, s8, v12
	s_wait_alu 0xf1ff
	v_add_co_ci_u32_e64 v41, s0, s9, v13, s0
	v_cmp_gt_u32_e64 s0, 48, v14
	s_wait_alu 0xf1ff
	s_delay_alu instid0(VALU_DEP_1)
	v_cndmask_b32_e64 v0, v0, v38, s0
	v_add_co_u32 v12, s0, s8, v42
	s_wait_alu 0xf1ff
	v_add_co_ci_u32_e64 v13, s0, s9, v43, s0
	s_clause 0x1
	global_load_b64 v[94:95], v[40:41], off offset:5680
	global_load_b64 v[96:97], v[12:13], off offset:5680
	v_lshlrev_b64_e32 v[42:43], 3, v[0:1]
	v_lshlrev_b32_e32 v0, 3, v0
	s_delay_alu instid0(VALU_DEP_2) | instskip(SKIP_1) | instid1(VALU_DEP_3)
	v_add_co_u32 v42, s0, s8, v42
	s_wait_alu 0xf1ff
	v_add_co_ci_u32_e64 v43, s0, s9, v43, s0
	s_clause 0x7
	global_load_b64 v[98:99], v[42:43], off offset:5680
	global_load_b64 v[100:101], v[2:3], off offset:6064
	;; [unrolled: 1-line block ×8, first 2 shown]
	ds_load_2addr_b64 v[42:45], v72 offset0:32 offset1:128
	ds_load_2addr_b64 v[74:77], v52 offset0:96 offset1:192
	;; [unrolled: 1-line block ×3, first 2 shown]
	v_cmp_lt_u32_e64 s0, 47, v14
	s_wait_loadcnt_dscnt 0xd02
	v_mul_f32_e32 v62, v87, v44
	s_wait_loadcnt_dscnt 0xc01
	v_dual_mul_f32 v114, v89, v74 :: v_dual_mul_f32 v1, v47, v43
	v_mul_f32_e32 v23, v47, v42
	v_mul_f32_e32 v47, v87, v45
	v_fmac_f32_e32 v62, v86, v45
	s_wait_loadcnt 0xb
	v_mul_f32_e32 v116, v76, v91
	v_fma_f32 v1, v46, v42, -v1
	v_fmac_f32_e32 v23, v46, v43
	v_mul_f32_e32 v46, v77, v91
	v_mul_f32_e32 v42, v89, v75
	v_fma_f32 v87, v86, v44, -v47
	s_wait_loadcnt_dscnt 0xa00
	v_dual_mul_f32 v47, v79, v93 :: v_dual_fmac_f32 v114, v88, v75
	v_fma_f32 v117, v76, v90, -v46
	v_fma_f32 v115, v88, v74, -v42
	v_fmac_f32_e32 v116, v77, v90
	s_delay_alu instid0(VALU_DEP_4)
	v_fma_f32 v119, v78, v92, -v47
	v_mul_f32_e32 v118, v78, v93
	ds_load_2addr_b64 v[74:77], v50 offset0:96 offset1:192
	s_wait_loadcnt 0x9
	v_mul_f32_e32 v120, v80, v95
	ds_load_2addr_b64 v[82:85], v73 offset0:96 offset1:192
	v_mul_f32_e32 v46, v81, v95
	v_fmac_f32_e32 v118, v79, v92
	v_fmac_f32_e32 v120, v81, v94
	s_wait_loadcnt_dscnt 0x301
	v_mul_f32_e32 v86, v77, v107
	v_mul_f32_e32 v128, v74, v105
	s_wait_dscnt 0x0
	v_mul_f32_e32 v47, v83, v97
	v_mul_f32_e32 v121, v82, v97
	v_fma_f32 v97, v80, v94, -v46
	v_mul_f32_e32 v46, v85, v99
	ds_load_2addr_b64 v[42:45], v71 offset0:32 offset1:128
	ds_load_2addr_b64 v[78:81], v53 offset0:32 offset1:128
	v_fma_f32 v122, v82, v96, -v47
	v_mul_f32_e32 v123, v84, v99
	v_fma_f32 v130, v76, v106, -v86
	v_mul_f32_e32 v131, v76, v107
	v_fmac_f32_e32 v121, v83, v96
	s_delay_alu instid0(VALU_DEP_4) | instskip(NEXT) | instid1(VALU_DEP_3)
	v_dual_fmac_f32 v128, v75, v104 :: v_dual_fmac_f32 v123, v85, v98
	v_fmac_f32_e32 v131, v77, v106
	s_wait_dscnt 0x1
	v_mul_f32_e32 v47, v43, v101
	v_mul_f32_e32 v124, v42, v101
	;; [unrolled: 1-line block ×3, first 2 shown]
	s_wait_loadcnt_dscnt 0x200
	v_dual_mul_f32 v127, v44, v103 :: v_dual_mul_f32 v76, v79, v109
	v_fma_f32 v125, v42, v100, -v47
	v_fmac_f32_e32 v124, v43, v100
	ds_load_b64 v[42:43], v48 offset:22272
	v_fma_f32 v126, v44, v102, -v82
	v_mul_f32_e32 v44, v75, v105
	v_fma_f32 v101, v84, v98, -v46
	ds_load_b64 v[46:47], v55
	ds_load_b64 v[82:83], v59
	;; [unrolled: 1-line block ×3, first 2 shown]
	v_dual_mul_f32 v132, v78, v109 :: v_dual_fmac_f32 v127, v45, v102
	v_fma_f32 v129, v74, v104, -v44
	ds_load_b64 v[44:45], v64
	ds_load_b64 v[74:75], v63
	v_fma_f32 v134, v78, v108, -v76
	ds_load_b64 v[76:77], v61
	s_wait_loadcnt 0x1
	v_mul_f32_e32 v86, v81, v111
	v_fmac_f32_e32 v132, v79, v108
	ds_load_b64 v[78:79], v60
	ds_load_b64 v[88:89], v70
	;; [unrolled: 1-line block ×3, first 2 shown]
	v_mul_f32_e32 v133, v80, v111
	v_fma_f32 v135, v80, v110, -v86
	s_wait_loadcnt_dscnt 0x9
	v_mul_f32_e32 v86, v43, v113
	s_delay_alu instid0(VALU_DEP_3)
	v_dual_mul_f32 v136, v42, v113 :: v_dual_fmac_f32 v133, v81, v110
	s_wait_dscnt 0x7
	v_sub_f32_e32 v96, v82, v97
	s_wait_dscnt 0x6
	v_sub_f32_e32 v80, v84, v1
	v_fma_f32 v137, v42, v112, -v86
	v_fmac_f32_e32 v136, v43, v112
	ds_load_b64 v[102:103], v68
	ds_load_b64 v[104:105], v67
	;; [unrolled: 1-line block ×6, first 2 shown]
	v_sub_f32_e32 v81, v85, v23
	s_wait_dscnt 0xb
	v_dual_sub_f32 v86, v44, v87 :: v_dual_sub_f32 v87, v45, v62
	s_wait_dscnt 0x9
	v_dual_sub_f32 v92, v76, v117 :: v_dual_sub_f32 v93, v77, v116
	v_fma_f32 v42, v84, 2.0, -v80
	v_sub_f32_e32 v84, v74, v115
	v_fma_f32 v43, v85, 2.0, -v81
	s_wait_dscnt 0x8
	v_dual_sub_f32 v85, v75, v114 :: v_dual_sub_f32 v94, v78, v119
	v_sub_f32_e32 v95, v79, v118
	v_sub_f32_e32 v97, v83, v120
	s_wait_alu 0xf1ff
	v_cndmask_b32_e64 v1, 0, 0x2d00, s0
	v_fma_f32 v44, v44, 2.0, -v86
	v_fma_f32 v45, v45, 2.0, -v87
	;; [unrolled: 1-line block ×4, first 2 shown]
	s_wait_dscnt 0x7
	v_dual_sub_f32 v98, v88, v122 :: v_dual_sub_f32 v99, v89, v121
	v_fma_f32 v74, v74, 2.0, -v84
	v_fma_f32 v75, v75, 2.0, -v85
	;; [unrolled: 1-line block ×4, first 2 shown]
	s_wait_dscnt 0x6
	v_dual_sub_f32 v100, v90, v101 :: v_dual_sub_f32 v101, v91, v123
	v_fma_f32 v82, v82, 2.0, -v96
	v_fma_f32 v83, v83, 2.0, -v97
	global_wb scope:SCOPE_SE
	s_wait_dscnt 0x0
	s_barrier_signal -1
	s_barrier_wait -1
	global_inv scope:SCOPE_SE
	ds_store_b64 v48, v[42:43]
	ds_store_b64 v48, v[80:81] offset:5760
	ds_store_b64 v64, v[44:45]
	ds_store_b64 v64, v[86:87] offset:5760
	;; [unrolled: 2-line block ×3, first 2 shown]
	v_add3_u32 v23, 0, v1, v0
	v_dual_sub_f32 v0, v102, v125 :: v_dual_sub_f32 v1, v103, v124
	v_dual_sub_f32 v42, v104, v126 :: v_dual_sub_f32 v43, v105, v127
	v_fma_f32 v88, v88, 2.0, -v98
	v_fma_f32 v89, v89, 2.0, -v99
	ds_store_b64 v61, v[76:77]
	ds_store_b64 v61, v[92:93] offset:5760
	ds_store_b64 v60, v[78:79]
	ds_store_b64 v60, v[94:95] offset:5760
	v_dual_sub_f32 v76, v46, v129 :: v_dual_sub_f32 v77, v47, v128
	v_dual_sub_f32 v78, v106, v130 :: v_dual_sub_f32 v79, v107, v131
	v_fma_f32 v90, v90, 2.0, -v100
	v_fma_f32 v91, v91, 2.0, -v101
	v_dual_sub_f32 v80, v108, v134 :: v_dual_sub_f32 v81, v109, v132
	v_dual_sub_f32 v86, v110, v135 :: v_dual_sub_f32 v87, v111, v133
	ds_store_b64 v59, v[82:83]
	ds_store_b64 v59, v[96:97] offset:5760
	ds_store_b64 v70, v[88:89]
	ds_store_b64 v70, v[98:99] offset:5760
	v_fma_f32 v44, v102, 2.0, -v0
	v_fma_f32 v45, v103, 2.0, -v1
	;; [unrolled: 1-line block ×4, first 2 shown]
	v_dual_sub_f32 v88, v112, v137 :: v_dual_sub_f32 v89, v113, v136
	v_fma_f32 v46, v46, 2.0, -v76
	v_fma_f32 v47, v47, 2.0, -v77
	;; [unrolled: 1-line block ×4, first 2 shown]
	ds_store_b64 v23, v[90:91]
	ds_store_b64 v23, v[100:101] offset:5760
	v_fma_f32 v84, v108, 2.0, -v80
	v_fma_f32 v85, v109, 2.0, -v81
	;; [unrolled: 1-line block ×6, first 2 shown]
	ds_store_2addr_b64 v72, v[44:45], v[74:75] offset0:80 offset1:176
	ds_store_2addr_b64 v50, v[42:43], v[76:77] offset1:96
	ds_store_2addr_b64 v52, v[46:47], v[82:83] offset0:144 offset1:240
	ds_store_2addr_b64 v54, v[78:79], v[80:81] offset0:64 offset1:160
	;; [unrolled: 1-line block ×5, first 2 shown]
	global_wb scope:SCOPE_SE
	s_wait_dscnt 0x0
	s_barrier_signal -1
	s_barrier_wait -1
	global_inv scope:SCOPE_SE
	s_clause 0x1
	global_load_b64 v[46:47], v[2:3], off offset:11440
	global_load_b64 v[86:87], v[6:7], off offset:11440
	v_lshlrev_b64_e32 v[0:1], 3, v[38:39]
	s_clause 0x2
	global_load_b64 v[88:89], v[4:5], off offset:11440
	global_load_b64 v[90:91], v[10:11], off offset:11440
	;; [unrolled: 1-line block ×3, first 2 shown]
	v_lshlrev_b64_e32 v[42:43], 3, v[26:27]
	v_add_co_u32 v38, s0, s8, v0
	s_wait_alu 0xf1ff
	v_add_co_ci_u32_e64 v39, s0, s9, v1, s0
	v_lshlrev_b64_e32 v[0:1], 3, v[34:35]
	v_add_co_u32 v36, s0, s8, v36
	s_wait_alu 0xf1ff
	v_add_co_ci_u32_e64 v37, s0, s9, v37, s0
	s_clause 0x3
	global_load_b64 v[94:95], v[40:41], off offset:11440
	global_load_b64 v[96:97], v[12:13], off offset:11440
	;; [unrolled: 1-line block ×4, first 2 shown]
	v_add_co_u32 v34, s0, s8, v0
	s_wait_alu 0xf1ff
	v_add_co_ci_u32_e64 v35, s0, s9, v1, s0
	v_lshlrev_b64_e32 v[0:1], 3, v[32:33]
	v_add_co_u32 v32, s0, s8, v30
	s_wait_alu 0xf1ff
	v_add_co_ci_u32_e64 v33, s0, s9, v31, s0
	global_load_b64 v[102:103], v[34:35], off offset:11440
	v_add_co_u32 v30, s0, s8, v0
	s_wait_alu 0xf1ff
	v_add_co_ci_u32_e64 v31, s0, s9, v1, s0
	v_lshlrev_b64_e32 v[0:1], 3, v[28:29]
	s_clause 0x1
	global_load_b64 v[28:29], v[32:33], off offset:11440
	global_load_b64 v[104:105], v[30:31], off offset:11440
	v_add_co_u32 v26, s0, s8, v0
	s_wait_alu 0xf1ff
	v_add_co_ci_u32_e64 v27, s0, s9, v1, s0
	v_lshlrev_b64_e32 v[0:1], 3, v[24:25]
	v_add_co_u32 v23, s0, s8, v42
	s_wait_alu 0xf1ff
	v_add_co_ci_u32_e64 v24, s0, s9, v43, s0
	global_load_b64 v[106:107], v[26:27], off offset:11440
	v_add_co_u32 v0, s0, s8, v0
	s_wait_alu 0xf1ff
	v_add_co_ci_u32_e64 v1, s0, s9, v1, s0
	s_clause 0x1
	global_load_b64 v[108:109], v[23:24], off offset:11440
	global_load_b64 v[110:111], v[0:1], off offset:11440
	ds_load_2addr_b64 v[42:45], v72 offset0:32 offset1:128
	ds_load_2addr_b64 v[74:77], v52 offset0:96 offset1:192
	;; [unrolled: 1-line block ×4, first 2 shown]
	v_cmp_ne_u32_e64 s0, 0, v14
	s_wait_loadcnt_dscnt 0xe03
	v_mul_f32_e32 v25, v47, v43
	v_mul_f32_e32 v54, v47, v42
	s_wait_loadcnt 0xd
	v_mul_f32_e32 v47, v87, v45
	v_mul_f32_e32 v56, v87, v44
	s_wait_loadcnt_dscnt 0xc02
	v_mul_f32_e32 v112, v89, v74
	v_fma_f32 v25, v46, v42, -v25
	v_fmac_f32_e32 v54, v46, v43
	v_fma_f32 v62, v86, v44, -v47
	v_fmac_f32_e32 v56, v86, v45
	ds_load_2addr_b64 v[42:45], v71 offset0:32 offset1:128
	v_mul_f32_e32 v46, v89, v75
	s_wait_loadcnt 0xb
	v_mul_f32_e32 v47, v77, v91
	v_mul_f32_e32 v113, v76, v91
	v_fmac_f32_e32 v112, v88, v75
	s_wait_loadcnt_dscnt 0xa02
	v_mul_f32_e32 v116, v78, v93
	v_fma_f32 v114, v88, v74, -v46
	v_mul_f32_e32 v46, v79, v93
	ds_load_2addr_b64 v[71:74], v50 offset0:96 offset1:192
	v_fma_f32 v115, v76, v90, -v47
	s_wait_loadcnt_dscnt 0x802
	v_mul_f32_e32 v47, v83, v97
	ds_load_2addr_b64 v[50:53], v53 offset0:32 offset1:128
	v_fma_f32 v117, v78, v92, -v46
	v_dual_mul_f32 v46, v81, v95 :: v_dual_mul_f32 v97, v82, v97
	v_fma_f32 v119, v82, v96, -v47
	v_dual_fmac_f32 v113, v77, v90 :: v_dual_fmac_f32 v116, v79, v92
	s_delay_alu instid0(VALU_DEP_3)
	v_fma_f32 v118, v80, v94, -v46
	s_wait_loadcnt 0x7
	v_mul_f32_e32 v46, v85, v99
	v_mul_f32_e32 v99, v84, v99
	s_wait_loadcnt_dscnt 0x602
	v_mul_f32_e32 v47, v43, v101
	v_fmac_f32_e32 v97, v83, v96
	s_wait_loadcnt 0x5
	v_mul_f32_e32 v75, v45, v103
	v_fma_f32 v96, v84, v98, -v46
	v_dual_fmac_f32 v99, v85, v98 :: v_dual_mul_f32 v98, v42, v101
	v_fma_f32 v101, v42, v100, -v47
	v_mul_f32_e32 v103, v44, v103
	ds_load_b64 v[46:47], v48 offset:22272
	s_wait_loadcnt_dscnt 0x402
	v_dual_mul_f32 v79, v72, v29 :: v_dual_fmac_f32 v98, v43, v100
	v_fma_f32 v100, v44, v102, -v75
	v_fmac_f32_e32 v103, v45, v102
	ds_load_b64 v[42:43], v55
	ds_load_b64 v[44:45], v59
	;; [unrolled: 1-line block ×4, first 2 shown]
	v_mul_f32_e32 v102, v71, v29
	s_wait_loadcnt 0x3
	v_mul_f32_e32 v29, v74, v105
	v_fma_f32 v120, v71, v28, -v79
	v_mul_f32_e32 v105, v73, v105
	v_mul_f32_e32 v95, v80, v95
	v_fmac_f32_e32 v102, v72, v28
	s_wait_loadcnt_dscnt 0x205
	v_mul_f32_e32 v28, v51, v107
	v_mul_f32_e32 v107, v50, v107
	v_fma_f32 v121, v73, v104, -v29
	v_fmac_f32_e32 v105, v74, v104
	s_wait_loadcnt 0x1
	v_mul_f32_e32 v29, v53, v109
	v_mul_f32_e32 v104, v52, v109
	v_fma_f32 v109, v50, v106, -v28
	v_fmac_f32_e32 v107, v51, v106
	ds_load_b64 v[50:51], v63
	s_wait_loadcnt_dscnt 0x5
	v_mul_f32_e32 v28, v47, v111
	v_fma_f32 v106, v52, v108, -v29
	v_fmac_f32_e32 v104, v53, v108
	s_wait_dscnt 0x2
	v_dual_mul_f32 v108, v46, v111 :: v_dual_sub_f32 v29, v76, v54
	v_fma_f32 v111, v46, v110, -v28
	v_sub_f32_e32 v28, v75, v25
	s_wait_dscnt 0x1
	v_dual_sub_f32 v52, v77, v62 :: v_dual_sub_f32 v53, v78, v56
	v_fmac_f32_e32 v95, v81, v94
	v_fmac_f32_e32 v108, v47, v110
	v_fma_f32 v46, v75, 2.0, -v28
	v_fma_f32 v47, v76, 2.0, -v29
	;; [unrolled: 1-line block ×4, first 2 shown]
	ds_load_b64 v[73:74], v61
	ds_load_b64 v[75:76], v60
	;; [unrolled: 1-line block ×10, first 2 shown]
	global_wb scope:SCOPE_SE
	s_wait_dscnt 0x0
	s_barrier_signal -1
	s_barrier_wait -1
	v_dual_sub_f32 v93, v50, v114 :: v_dual_sub_f32 v94, v51, v112
	global_inv scope:SCOPE_SE
	ds_store_b64 v48, v[46:47]
	ds_store_b64 v48, v[28:29] offset:11520
	ds_store_b64 v64, v[71:72]
	ds_store_b64 v64, v[52:53] offset:11520
	v_sub_f32_e32 v62, v44, v118
	v_fma_f32 v50, v50, 2.0, -v93
	v_fma_f32 v51, v51, 2.0, -v94
	v_dual_sub_f32 v28, v73, v115 :: v_dual_sub_f32 v29, v74, v113
	v_sub_f32_e32 v46, v75, v117
	ds_store_b64 v63, v[50:51]
	ds_store_b64 v63, v[93:94] offset:11520
	v_sub_f32_e32 v47, v76, v116
	v_fma_f32 v50, v73, 2.0, -v28
	v_fma_f32 v51, v74, 2.0, -v29
	v_dual_sub_f32 v71, v77, v119 :: v_dual_sub_f32 v72, v78, v97
	v_dual_sub_f32 v73, v79, v96 :: v_dual_sub_f32 v74, v80, v99
	v_sub_f32_e32 v63, v45, v95
	v_dual_sub_f32 v95, v42, v120 :: v_dual_sub_f32 v96, v43, v102
	v_fma_f32 v52, v75, 2.0, -v46
	v_fma_f32 v53, v76, 2.0, -v47
	;; [unrolled: 1-line block ×5, first 2 shown]
	v_dual_sub_f32 v93, v81, v101 :: v_dual_sub_f32 v94, v82, v98
	v_sub_f32_e32 v79, v83, v100
	v_fma_f32 v78, v80, 2.0, -v74
	v_dual_sub_f32 v80, v84, v103 :: v_dual_sub_f32 v97, v85, v121
	v_sub_f32_e32 v98, v86, v105
	v_dual_sub_f32 v99, v87, v109 :: v_dual_sub_f32 v100, v88, v107
	v_dual_sub_f32 v101, v89, v106 :: v_dual_sub_f32 v102, v90, v104
	;; [unrolled: 1-line block ×3, first 2 shown]
	v_fma_f32 v44, v44, 2.0, -v62
	v_fma_f32 v45, v45, 2.0, -v63
	;; [unrolled: 1-line block ×16, first 2 shown]
	ds_store_b64 v61, v[50:51]
	ds_store_b64 v61, v[28:29] offset:11520
	ds_store_b64 v60, v[52:53]
	ds_store_b64 v60, v[46:47] offset:11520
	ds_store_b64 v59, v[44:45]
	ds_store_b64 v59, v[62:63] offset:11520
	ds_store_b64 v70, v[75:76]
	ds_store_b64 v70, v[71:72] offset:11520
	ds_store_b64 v69, v[77:78]
	ds_store_b64 v69, v[73:74] offset:11520
	ds_store_b64 v68, v[81:82]
	ds_store_b64 v68, v[93:94] offset:11520
	ds_store_b64 v67, v[83:84]
	ds_store_b64 v67, v[79:80] offset:11520
	ds_store_b64 v55, v[42:43]
	ds_store_b64 v55, v[95:96] offset:11520
	ds_store_b64 v66, v[85:86]
	ds_store_b64 v66, v[97:98] offset:11520
	ds_store_b64 v65, v[87:88]
	ds_store_b64 v65, v[99:100] offset:11520
	ds_store_b64 v21, v[89:90]
	ds_store_b64 v21, v[101:102] offset:11520
	ds_store_b64 v15, v[91:92]
	ds_store_b64 v15, v[103:104] offset:11520
	global_wb scope:SCOPE_SE
	s_wait_dscnt 0x0
	s_barrier_signal -1
	s_barrier_wait -1
	global_inv scope:SCOPE_SE
	ds_load_b64 v[42:43], v48
	v_sub_nc_u32_e32 v25, 0, v49
                                        ; implicit-def: $vgpr29
                                        ; implicit-def: $vgpr44
	s_and_saveexec_b32 s1, s0
	s_wait_alu 0xfffe
	s_xor_b32 s0, exec_lo, s1
	s_cbranch_execz .LBB0_15
; %bb.14:
	global_load_b64 v[2:3], v[2:3], off offset:22960
	ds_load_b64 v[28:29], v25 offset:23040
	s_wait_dscnt 0x0
	v_dual_sub_f32 v44, v42, v28 :: v_dual_add_f32 v45, v29, v43
	v_dual_sub_f32 v29, v43, v29 :: v_dual_add_f32 v28, v28, v42
	s_delay_alu instid0(VALU_DEP_2) | instskip(SKIP_1) | instid1(VALU_DEP_1)
	v_dual_mul_f32 v43, 0.5, v44 :: v_dual_mul_f32 v42, 0.5, v45
	s_wait_loadcnt 0x0
	v_dual_mul_f32 v29, 0.5, v29 :: v_dual_mul_f32 v44, v3, v43
	s_delay_alu instid0(VALU_DEP_1) | instskip(SKIP_1) | instid1(VALU_DEP_3)
	v_fma_f32 v45, v42, v3, v29
	v_fma_f32 v3, v42, v3, -v29
	v_fma_f32 v46, 0.5, v28, v44
	v_fma_f32 v28, v28, 0.5, -v44
	s_delay_alu instid0(VALU_DEP_4) | instskip(NEXT) | instid1(VALU_DEP_4)
	v_fma_f32 v44, -v2, v43, v45
	v_fma_f32 v29, -v2, v43, v3
	s_delay_alu instid0(VALU_DEP_4) | instskip(NEXT) | instid1(VALU_DEP_4)
	v_fmac_f32_e32 v46, v2, v42
	v_fma_f32 v28, -v2, v42, v28
                                        ; implicit-def: $vgpr42_vgpr43
	ds_store_b32 v48, v46
.LBB0_15:
	s_wait_alu 0xfffe
	s_or_saveexec_b32 s0, s0
	v_mul_i32_i24_e32 v3, 0xffffffb8, v20
	v_mul_i32_i24_e32 v2, 0xffffffb8, v22
	s_wait_alu 0xfffe
	s_xor_b32 exec_lo, exec_lo, s0
	s_cbranch_execz .LBB0_17
; %bb.16:
	v_mov_b32_e32 v44, 0
	s_wait_dscnt 0x0
	v_add_f32_e32 v22, v42, v43
	s_delay_alu instid0(VALU_DEP_2)
	v_dual_sub_f32 v28, v42, v43 :: v_dual_mov_b32 v29, v44
	ds_load_b32 v20, v44 offset:11524
	s_wait_dscnt 0x0
	v_xor_b32_e32 v20, 0x80000000, v20
	ds_store_b32 v48, v22
	ds_store_b32 v44, v20 offset:11524
.LBB0_17:
	s_or_b32 exec_lo, exec_lo, s0
	s_clause 0x5
	global_load_b64 v[6:7], v[6:7], off offset:22960
	global_load_b64 v[4:5], v[4:5], off offset:22960
	;; [unrolled: 1-line block ×6, first 2 shown]
	v_add_nc_u32_e32 v3, v58, v3
	ds_store_b32 v48, v44 offset:4
	ds_store_b64 v25, v[28:29] offset:23040
	ds_load_b64 v[28:29], v3
	s_wait_dscnt 0x3
	ds_load_b64 v[42:43], v25 offset:22272
	global_load_b64 v[38:39], v[38:39], off offset:22960
	s_wait_dscnt 0x0
	v_sub_f32_e32 v20, v28, v42
	v_add_f32_e32 v22, v29, v43
	v_dual_sub_f32 v29, v29, v43 :: v_dual_add_f32 v42, v28, v42
	s_delay_alu instid0(VALU_DEP_1) | instskip(SKIP_1) | instid1(VALU_DEP_1)
	v_dual_mul_f32 v20, 0.5, v20 :: v_dual_mul_f32 v29, 0.5, v29
	s_wait_loadcnt 0x6
	v_dual_mul_f32 v22, 0.5, v22 :: v_dual_mul_f32 v43, v7, v20
	s_delay_alu instid0(VALU_DEP_1) | instskip(SKIP_1) | instid1(VALU_DEP_3)
	v_fma_f32 v44, v22, v7, v29
	v_fma_f32 v7, v22, v7, -v29
	v_fma_f32 v28, 0.5, v42, v43
	v_fma_f32 v42, v42, 0.5, -v43
	s_delay_alu instid0(VALU_DEP_4) | instskip(NEXT) | instid1(VALU_DEP_4)
	v_fma_f32 v29, -v6, v20, v44
	v_fma_f32 v7, -v6, v20, v7
	v_add_nc_u32_e32 v20, v57, v2
	v_fmac_f32_e32 v28, v6, v22
	v_fma_f32 v6, -v6, v22, v42
	ds_store_b64 v3, v[28:29]
	ds_store_b64 v25, v[6:7] offset:22272
	ds_load_b64 v[2:3], v20
	ds_load_b64 v[6:7], v25 offset:21504
	global_load_b64 v[28:29], v[36:37], off offset:22960
	s_wait_dscnt 0x0
	v_sub_f32_e32 v22, v2, v6
	v_add_f32_e32 v36, v3, v7
	v_dual_sub_f32 v3, v3, v7 :: v_dual_add_f32 v6, v2, v6
	s_delay_alu instid0(VALU_DEP_2) | instskip(NEXT) | instid1(VALU_DEP_2)
	v_dual_mul_f32 v7, 0.5, v22 :: v_dual_mul_f32 v22, 0.5, v36
	v_mul_f32_e32 v3, 0.5, v3
	s_wait_loadcnt 0x6
	s_delay_alu instid0(VALU_DEP_2) | instskip(NEXT) | instid1(VALU_DEP_2)
	v_mul_f32_e32 v36, v5, v7
	v_fma_f32 v37, v22, v5, v3
	v_fma_f32 v5, v22, v5, -v3
	s_delay_alu instid0(VALU_DEP_3) | instskip(SKIP_1) | instid1(VALU_DEP_4)
	v_fma_f32 v2, 0.5, v6, v36
	v_fma_f32 v6, v6, 0.5, -v36
	v_fma_f32 v3, -v4, v7, v37
	s_delay_alu instid0(VALU_DEP_4) | instskip(NEXT) | instid1(VALU_DEP_4)
	v_fma_f32 v5, -v4, v7, v5
	v_fmac_f32_e32 v2, v4, v22
	s_delay_alu instid0(VALU_DEP_4)
	v_fma_f32 v4, -v4, v22, v6
	ds_store_b64 v20, v[2:3]
	ds_store_b64 v25, v[4:5] offset:21504
	ds_load_b64 v[2:3], v61
	ds_load_b64 v[4:5], v25 offset:20736
	global_load_b64 v[6:7], v[34:35], off offset:22960
	s_wait_dscnt 0x0
	v_sub_f32_e32 v20, v2, v4
	v_add_f32_e32 v22, v3, v5
	v_dual_sub_f32 v3, v3, v5 :: v_dual_add_f32 v4, v2, v4
	s_delay_alu instid0(VALU_DEP_2) | instskip(SKIP_1) | instid1(VALU_DEP_1)
	v_dual_mul_f32 v5, 0.5, v20 :: v_dual_mul_f32 v20, 0.5, v22
	s_wait_loadcnt 0x6
	v_dual_mul_f32 v3, 0.5, v3 :: v_dual_mul_f32 v22, v11, v5
	s_delay_alu instid0(VALU_DEP_1) | instskip(SKIP_1) | instid1(VALU_DEP_3)
	v_fma_f32 v34, v20, v11, v3
	v_fma_f32 v11, v20, v11, -v3
	v_fma_f32 v2, 0.5, v4, v22
	v_fma_f32 v4, v4, 0.5, -v22
	s_delay_alu instid0(VALU_DEP_4) | instskip(NEXT) | instid1(VALU_DEP_4)
	v_fma_f32 v3, -v10, v5, v34
	v_fma_f32 v5, -v10, v5, v11
	s_delay_alu instid0(VALU_DEP_4) | instskip(NEXT) | instid1(VALU_DEP_4)
	v_fmac_f32_e32 v2, v10, v20
	v_fma_f32 v4, -v10, v20, v4
	ds_store_b64 v61, v[2:3]
	ds_store_b64 v25, v[4:5] offset:20736
	ds_load_b64 v[2:3], v60
	ds_load_b64 v[4:5], v25 offset:19968
	global_load_b64 v[10:11], v[32:33], off offset:22960
	s_wait_dscnt 0x0
	v_sub_f32_e32 v20, v2, v4
	v_add_f32_e32 v22, v3, v5
	v_dual_sub_f32 v3, v3, v5 :: v_dual_add_f32 v4, v2, v4
	s_delay_alu instid0(VALU_DEP_2) | instskip(SKIP_1) | instid1(VALU_DEP_1)
	v_dual_mul_f32 v5, 0.5, v20 :: v_dual_mul_f32 v20, 0.5, v22
	s_wait_loadcnt 0x6
	v_dual_mul_f32 v3, 0.5, v3 :: v_dual_mul_f32 v22, v9, v5
	s_delay_alu instid0(VALU_DEP_1) | instskip(SKIP_1) | instid1(VALU_DEP_3)
	v_fma_f32 v32, v20, v9, v3
	v_fma_f32 v9, v20, v9, -v3
	v_fma_f32 v2, 0.5, v4, v22
	v_fma_f32 v4, v4, 0.5, -v22
	s_delay_alu instid0(VALU_DEP_4) | instskip(NEXT) | instid1(VALU_DEP_4)
	v_fma_f32 v3, -v8, v5, v32
	v_fma_f32 v5, -v8, v5, v9
	s_delay_alu instid0(VALU_DEP_4) | instskip(NEXT) | instid1(VALU_DEP_4)
	v_fmac_f32_e32 v2, v8, v20
	v_fma_f32 v4, -v8, v20, v4
	ds_store_b64 v60, v[2:3]
	ds_store_b64 v25, v[4:5] offset:19968
	ds_load_b64 v[2:3], v59
	ds_load_b64 v[8:9], v25 offset:19200
	s_clause 0x1
	global_load_b64 v[4:5], v[30:31], off offset:22960
	global_load_b64 v[26:27], v[26:27], off offset:22960
	s_wait_dscnt 0x0
	v_sub_f32_e32 v20, v2, v8
	v_add_f32_e32 v22, v3, v9
	v_dual_sub_f32 v3, v3, v9 :: v_dual_add_f32 v8, v2, v8
	s_delay_alu instid0(VALU_DEP_2) | instskip(SKIP_1) | instid1(VALU_DEP_1)
	v_dual_mul_f32 v9, 0.5, v20 :: v_dual_mul_f32 v20, 0.5, v22
	s_wait_loadcnt 0x7
	v_dual_mul_f32 v3, 0.5, v3 :: v_dual_mul_f32 v22, v41, v9
	s_delay_alu instid0(VALU_DEP_1) | instskip(SKIP_1) | instid1(VALU_DEP_3)
	v_fma_f32 v30, v20, v41, v3
	v_fma_f32 v31, v20, v41, -v3
	v_fma_f32 v2, 0.5, v8, v22
	v_fma_f32 v8, v8, 0.5, -v22
	s_delay_alu instid0(VALU_DEP_4) | instskip(NEXT) | instid1(VALU_DEP_4)
	v_fma_f32 v3, -v40, v9, v30
	v_fma_f32 v9, -v40, v9, v31
	s_delay_alu instid0(VALU_DEP_4) | instskip(NEXT) | instid1(VALU_DEP_4)
	v_fmac_f32_e32 v2, v40, v20
	v_fma_f32 v8, -v40, v20, v8
	ds_store_b64 v59, v[2:3]
	ds_store_b64 v25, v[8:9] offset:19200
	ds_load_b64 v[2:3], v70
	ds_load_b64 v[8:9], v25 offset:18432
	s_wait_dscnt 0x0
	v_sub_f32_e32 v20, v2, v8
	v_add_f32_e32 v22, v3, v9
	v_dual_sub_f32 v3, v3, v9 :: v_dual_add_f32 v8, v2, v8
	s_delay_alu instid0(VALU_DEP_2) | instskip(SKIP_1) | instid1(VALU_DEP_1)
	v_dual_mul_f32 v9, 0.5, v20 :: v_dual_mul_f32 v20, 0.5, v22
	s_wait_loadcnt 0x6
	v_dual_mul_f32 v3, 0.5, v3 :: v_dual_mul_f32 v22, v13, v9
	s_delay_alu instid0(VALU_DEP_1) | instskip(SKIP_1) | instid1(VALU_DEP_3)
	v_fma_f32 v30, v20, v13, v3
	v_fma_f32 v13, v20, v13, -v3
	v_fma_f32 v2, 0.5, v8, v22
	v_fma_f32 v8, v8, 0.5, -v22
	s_delay_alu instid0(VALU_DEP_4) | instskip(NEXT) | instid1(VALU_DEP_4)
	v_fma_f32 v3, -v12, v9, v30
	v_fma_f32 v9, -v12, v9, v13
	s_delay_alu instid0(VALU_DEP_4) | instskip(NEXT) | instid1(VALU_DEP_4)
	v_fmac_f32_e32 v2, v12, v20
	v_fma_f32 v8, -v12, v20, v8
	ds_store_b64 v70, v[2:3]
	ds_store_b64 v25, v[8:9] offset:18432
	global_load_b64 v[2:3], v[23:24], off offset:22960
	ds_load_b64 v[8:9], v69
	ds_load_b64 v[12:13], v25 offset:17664
	global_load_b64 v[0:1], v[0:1], off offset:22960
	s_wait_dscnt 0x0
	v_sub_f32_e32 v20, v8, v12
	v_add_f32_e32 v22, v9, v13
	v_dual_sub_f32 v9, v9, v13 :: v_dual_add_f32 v12, v8, v12
	s_delay_alu instid0(VALU_DEP_2) | instskip(NEXT) | instid1(VALU_DEP_2)
	v_dual_mul_f32 v13, 0.5, v20 :: v_dual_mul_f32 v20, 0.5, v22
	v_mul_f32_e32 v9, 0.5, v9
	s_wait_loadcnt 0x7
	s_delay_alu instid0(VALU_DEP_2) | instskip(NEXT) | instid1(VALU_DEP_2)
	v_mul_f32_e32 v22, v39, v13
	v_fma_f32 v23, v20, v39, v9
	v_fma_f32 v24, v20, v39, -v9
	s_delay_alu instid0(VALU_DEP_3) | instskip(SKIP_1) | instid1(VALU_DEP_4)
	v_fma_f32 v8, 0.5, v12, v22
	v_fma_f32 v12, v12, 0.5, -v22
	v_fma_f32 v9, -v38, v13, v23
	s_delay_alu instid0(VALU_DEP_4) | instskip(NEXT) | instid1(VALU_DEP_4)
	v_fma_f32 v13, -v38, v13, v24
	v_fmac_f32_e32 v8, v38, v20
	s_delay_alu instid0(VALU_DEP_4)
	v_fma_f32 v12, -v38, v20, v12
	ds_store_b64 v69, v[8:9]
	ds_store_b64 v25, v[12:13] offset:17664
	ds_load_b64 v[8:9], v68
	ds_load_b64 v[12:13], v25 offset:16896
	s_wait_dscnt 0x0
	v_sub_f32_e32 v20, v8, v12
	v_add_f32_e32 v22, v9, v13
	v_dual_sub_f32 v9, v9, v13 :: v_dual_add_f32 v12, v8, v12
	s_delay_alu instid0(VALU_DEP_2) | instskip(NEXT) | instid1(VALU_DEP_2)
	v_dual_mul_f32 v13, 0.5, v20 :: v_dual_mul_f32 v20, 0.5, v22
	v_mul_f32_e32 v9, 0.5, v9
	s_wait_loadcnt 0x6
	s_delay_alu instid0(VALU_DEP_2) | instskip(NEXT) | instid1(VALU_DEP_2)
	v_mul_f32_e32 v22, v29, v13
	v_fma_f32 v23, v20, v29, v9
	v_fma_f32 v24, v20, v29, -v9
	s_delay_alu instid0(VALU_DEP_3) | instskip(SKIP_1) | instid1(VALU_DEP_4)
	v_fma_f32 v8, 0.5, v12, v22
	v_fma_f32 v12, v12, 0.5, -v22
	v_fma_f32 v9, -v28, v13, v23
	s_delay_alu instid0(VALU_DEP_4) | instskip(NEXT) | instid1(VALU_DEP_4)
	v_fma_f32 v13, -v28, v13, v24
	v_fmac_f32_e32 v8, v28, v20
	s_delay_alu instid0(VALU_DEP_4)
	v_fma_f32 v12, -v28, v20, v12
	ds_store_b64 v68, v[8:9]
	ds_store_b64 v25, v[12:13] offset:16896
	ds_load_b64 v[8:9], v67
	ds_load_b64 v[12:13], v25 offset:16128
	;; [unrolled: 25-line block ×3, first 2 shown]
	s_wait_dscnt 0x0
	v_dual_sub_f32 v12, v6, v8 :: v_dual_add_f32 v13, v7, v9
	v_dual_sub_f32 v7, v7, v9 :: v_dual_add_f32 v8, v6, v8
	s_delay_alu instid0(VALU_DEP_2) | instskip(NEXT) | instid1(VALU_DEP_2)
	v_dual_mul_f32 v9, 0.5, v12 :: v_dual_mul_f32 v12, 0.5, v13
	v_mul_f32_e32 v7, 0.5, v7
	s_wait_loadcnt 0x4
	s_delay_alu instid0(VALU_DEP_2) | instskip(NEXT) | instid1(VALU_DEP_2)
	v_mul_f32_e32 v13, v11, v9
	v_fma_f32 v20, v12, v11, v7
	v_fma_f32 v11, v12, v11, -v7
	s_delay_alu instid0(VALU_DEP_3) | instskip(SKIP_1) | instid1(VALU_DEP_4)
	v_fma_f32 v6, 0.5, v8, v13
	v_fma_f32 v8, v8, 0.5, -v13
	v_fma_f32 v7, -v10, v9, v20
	s_delay_alu instid0(VALU_DEP_4) | instskip(NEXT) | instid1(VALU_DEP_4)
	v_fma_f32 v9, -v10, v9, v11
	v_fmac_f32_e32 v6, v10, v12
	s_delay_alu instid0(VALU_DEP_4)
	v_fma_f32 v8, -v10, v12, v8
	ds_store_b64 v55, v[6:7]
	ds_store_b64 v25, v[8:9] offset:15360
	ds_load_b64 v[6:7], v66
	ds_load_b64 v[8:9], v25 offset:14592
	s_wait_dscnt 0x0
	v_dual_sub_f32 v10, v6, v8 :: v_dual_add_f32 v11, v7, v9
	v_dual_sub_f32 v7, v7, v9 :: v_dual_add_f32 v6, v6, v8
	s_delay_alu instid0(VALU_DEP_2) | instskip(SKIP_1) | instid1(VALU_DEP_1)
	v_dual_mul_f32 v9, 0.5, v10 :: v_dual_mul_f32 v10, 0.5, v11
	s_wait_loadcnt 0x3
	v_dual_mul_f32 v7, 0.5, v7 :: v_dual_mul_f32 v8, v5, v9
	s_delay_alu instid0(VALU_DEP_1) | instskip(SKIP_1) | instid1(VALU_DEP_3)
	v_fma_f32 v11, v10, v5, v7
	v_fma_f32 v7, v10, v5, -v7
	v_fma_f32 v5, 0.5, v6, v8
	v_fma_f32 v12, v6, 0.5, -v8
	s_delay_alu instid0(VALU_DEP_4) | instskip(NEXT) | instid1(VALU_DEP_4)
	v_fma_f32 v6, -v4, v9, v11
	v_fma_f32 v8, -v4, v9, v7
	s_delay_alu instid0(VALU_DEP_4) | instskip(NEXT) | instid1(VALU_DEP_4)
	v_fmac_f32_e32 v5, v4, v10
	v_fma_f32 v7, -v4, v10, v12
	ds_store_b64 v66, v[5:6]
	ds_store_b64 v25, v[7:8] offset:14592
	ds_load_b64 v[4:5], v65
	ds_load_b64 v[6:7], v25 offset:13824
	s_wait_dscnt 0x0
	v_dual_sub_f32 v8, v4, v6 :: v_dual_add_f32 v9, v5, v7
	v_dual_sub_f32 v5, v5, v7 :: v_dual_add_f32 v6, v4, v6
	s_delay_alu instid0(VALU_DEP_2) | instskip(NEXT) | instid1(VALU_DEP_2)
	v_dual_mul_f32 v7, 0.5, v8 :: v_dual_mul_f32 v8, 0.5, v9
	v_mul_f32_e32 v5, 0.5, v5
	s_wait_loadcnt 0x2
	s_delay_alu instid0(VALU_DEP_2) | instskip(NEXT) | instid1(VALU_DEP_2)
	v_mul_f32_e32 v9, v27, v7
	v_fma_f32 v10, v8, v27, v5
	v_fma_f32 v11, v8, v27, -v5
	s_delay_alu instid0(VALU_DEP_3) | instskip(SKIP_1) | instid1(VALU_DEP_4)
	v_fma_f32 v4, 0.5, v6, v9
	v_fma_f32 v6, v6, 0.5, -v9
	v_fma_f32 v5, -v26, v7, v10
	s_delay_alu instid0(VALU_DEP_4) | instskip(NEXT) | instid1(VALU_DEP_4)
	v_fma_f32 v7, -v26, v7, v11
	v_fmac_f32_e32 v4, v26, v8
	s_delay_alu instid0(VALU_DEP_4)
	v_fma_f32 v6, -v26, v8, v6
	ds_store_b64 v65, v[4:5]
	ds_store_b64 v25, v[6:7] offset:13824
	ds_load_b64 v[4:5], v21
	ds_load_b64 v[6:7], v25 offset:13056
	s_wait_dscnt 0x0
	v_dual_sub_f32 v8, v4, v6 :: v_dual_add_f32 v9, v5, v7
	v_dual_sub_f32 v5, v5, v7 :: v_dual_add_f32 v4, v4, v6
	s_delay_alu instid0(VALU_DEP_2) | instskip(SKIP_1) | instid1(VALU_DEP_1)
	v_dual_mul_f32 v7, 0.5, v8 :: v_dual_mul_f32 v8, 0.5, v9
	s_wait_loadcnt 0x1
	v_dual_mul_f32 v5, 0.5, v5 :: v_dual_mul_f32 v6, v3, v7
	s_delay_alu instid0(VALU_DEP_1) | instskip(SKIP_1) | instid1(VALU_DEP_3)
	v_fma_f32 v9, v8, v3, v5
	v_fma_f32 v5, v8, v3, -v5
	v_fma_f32 v3, 0.5, v4, v6
	v_fma_f32 v10, v4, 0.5, -v6
	s_delay_alu instid0(VALU_DEP_4) | instskip(NEXT) | instid1(VALU_DEP_4)
	v_fma_f32 v4, -v2, v7, v9
	v_fma_f32 v6, -v2, v7, v5
	s_delay_alu instid0(VALU_DEP_4) | instskip(NEXT) | instid1(VALU_DEP_4)
	v_fmac_f32_e32 v3, v2, v8
	v_fma_f32 v5, -v2, v8, v10
	ds_store_b64 v21, v[3:4]
	ds_store_b64 v25, v[5:6] offset:13056
	ds_load_b64 v[2:3], v15
	ds_load_b64 v[4:5], v25 offset:12288
	s_wait_dscnt 0x0
	v_dual_sub_f32 v6, v2, v4 :: v_dual_add_f32 v7, v3, v5
	v_dual_sub_f32 v3, v3, v5 :: v_dual_add_f32 v2, v2, v4
	s_delay_alu instid0(VALU_DEP_2) | instskip(SKIP_1) | instid1(VALU_DEP_1)
	v_dual_mul_f32 v5, 0.5, v6 :: v_dual_mul_f32 v6, 0.5, v7
	s_wait_loadcnt 0x0
	v_dual_mul_f32 v3, 0.5, v3 :: v_dual_mul_f32 v4, v1, v5
	s_delay_alu instid0(VALU_DEP_1) | instskip(SKIP_1) | instid1(VALU_DEP_3)
	v_fma_f32 v7, v6, v1, v3
	v_fma_f32 v3, v6, v1, -v3
	v_fma_f32 v1, 0.5, v2, v4
	v_fma_f32 v8, v2, 0.5, -v4
	s_delay_alu instid0(VALU_DEP_4) | instskip(NEXT) | instid1(VALU_DEP_4)
	v_fma_f32 v2, -v0, v5, v7
	v_fma_f32 v4, -v0, v5, v3
	s_delay_alu instid0(VALU_DEP_4) | instskip(NEXT) | instid1(VALU_DEP_4)
	v_fmac_f32_e32 v1, v0, v6
	v_fma_f32 v3, -v0, v6, v8
	ds_store_b64 v15, v[1:2]
	ds_store_b64 v25, v[3:4] offset:12288
	global_wb scope:SCOPE_SE
	s_wait_dscnt 0x0
	s_barrier_signal -1
	s_barrier_wait -1
	global_inv scope:SCOPE_SE
	s_and_saveexec_b32 s0, vcc_lo
	s_cbranch_execz .LBB0_20
; %bb.18:
	v_mul_lo_u32 v2, s3, v18
	v_mul_lo_u32 v3, s2, v19
	v_mad_co_u64_u32 v[0:1], null, s2, v18, 0
	v_dual_mov_b32 v15, 0 :: v_dual_add_nc_u32 v8, 0x60, v14
	v_lshl_add_u32 v24, v14, 3, 0
	v_lshlrev_b64_e32 v[6:7], 3, v[16:17]
	s_delay_alu instid0(VALU_DEP_3) | instskip(SKIP_1) | instid1(VALU_DEP_4)
	v_dual_mov_b32 v9, v15 :: v_dual_add_nc_u32 v10, 0xc0, v14
	v_add3_u32 v1, v1, v3, v2
	v_dual_mov_b32 v11, v15 :: v_dual_add_nc_u32 v18, 0x400, v24
	ds_load_2addr_b64 v[2:5], v24 offset1:96
	v_lshlrev_b64_e32 v[12:13], 3, v[14:15]
	v_lshlrev_b64_e32 v[0:1], 3, v[0:1]
	;; [unrolled: 1-line block ×4, first 2 shown]
	v_dual_mov_b32 v21, v15 :: v_dual_add_nc_u32 v20, 0x180, v14
	v_add_nc_u32_e32 v22, 0x800, v24
	v_add_co_u32 v0, vcc_lo, s6, v0
	s_wait_alu 0xfffd
	v_add_co_ci_u32_e32 v1, vcc_lo, s7, v1, vcc_lo
	v_add_nc_u32_e32 v25, 0x4800, v24
	s_delay_alu instid0(VALU_DEP_3) | instskip(SKIP_1) | instid1(VALU_DEP_3)
	v_add_co_u32 v0, vcc_lo, v0, v6
	s_wait_alu 0xfffd
	v_add_co_ci_u32_e32 v1, vcc_lo, v1, v7, vcc_lo
	ds_load_2addr_b64 v[6:9], v18 offset0:64 offset1:160
	v_dual_mov_b32 v19, v15 :: v_dual_add_nc_u32 v18, 0x120, v14
	v_add_co_u32 v12, vcc_lo, v0, v12
	s_wait_alu 0xfffd
	v_add_co_ci_u32_e32 v13, vcc_lo, v1, v13, vcc_lo
	v_add_co_u32 v16, vcc_lo, v0, v16
	v_lshlrev_b64_e32 v[18:19], 3, v[18:19]
	s_wait_alu 0xfffd
	v_add_co_ci_u32_e32 v17, vcc_lo, v1, v17, vcc_lo
	v_add_co_u32 v10, vcc_lo, v0, v10
	s_wait_alu 0xfffd
	v_add_co_ci_u32_e32 v11, vcc_lo, v1, v11, vcc_lo
	v_add_co_u32 v18, vcc_lo, v0, v18
	s_wait_alu 0xfffd
	v_add_co_ci_u32_e32 v19, vcc_lo, v1, v19, vcc_lo
	s_wait_dscnt 0x1
	s_clause 0x1
	global_store_b64 v[12:13], v[2:3], off
	global_store_b64 v[16:17], v[4:5], off
	s_wait_dscnt 0x0
	s_clause 0x1
	global_store_b64 v[10:11], v[6:7], off
	global_store_b64 v[18:19], v[8:9], off
	v_lshlrev_b64_e32 v[6:7], 3, v[20:21]
	v_dual_mov_b32 v11, v15 :: v_dual_add_nc_u32 v8, 0x1e0, v14
	v_dual_mov_b32 v9, v15 :: v_dual_add_nc_u32 v18, 0x1000, v24
	ds_load_2addr_b64 v[2:5], v22 offset0:128 offset1:224
	v_add_co_u32 v12, vcc_lo, v0, v6
	v_dual_mov_b32 v19, v15 :: v_dual_add_nc_u32 v10, 0x240, v14
	s_wait_alu 0xfffd
	v_add_co_ci_u32_e32 v13, vcc_lo, v1, v7, vcc_lo
	v_lshlrev_b64_e32 v[16:17], 3, v[8:9]
	ds_load_2addr_b64 v[6:9], v18 offset0:64 offset1:160
	v_add_nc_u32_e32 v18, 0x2a0, v14
	v_lshlrev_b64_e32 v[10:11], 3, v[10:11]
	v_add_nc_u32_e32 v20, 0x300, v14
	v_add_nc_u32_e32 v22, 0x1800, v24
	v_add_co_u32 v16, vcc_lo, v0, v16
	v_lshlrev_b64_e32 v[18:19], 3, v[18:19]
	s_wait_alu 0xfffd
	v_add_co_ci_u32_e32 v17, vcc_lo, v1, v17, vcc_lo
	v_add_co_u32 v10, vcc_lo, v0, v10
	s_wait_alu 0xfffd
	v_add_co_ci_u32_e32 v11, vcc_lo, v1, v11, vcc_lo
	v_add_co_u32 v18, vcc_lo, v0, v18
	s_wait_alu 0xfffd
	v_add_co_ci_u32_e32 v19, vcc_lo, v1, v19, vcc_lo
	s_wait_dscnt 0x1
	s_clause 0x1
	global_store_b64 v[12:13], v[2:3], off
	global_store_b64 v[16:17], v[4:5], off
	s_wait_dscnt 0x0
	s_clause 0x1
	global_store_b64 v[10:11], v[6:7], off
	global_store_b64 v[18:19], v[8:9], off
	v_mov_b32_e32 v19, v15
	v_lshlrev_b64_e32 v[6:7], 3, v[20:21]
	v_dual_mov_b32 v9, v15 :: v_dual_add_nc_u32 v8, 0x360, v14
	v_add_nc_u32_e32 v18, 0x1c00, v24
	ds_load_2addr_b64 v[2:5], v22 offset1:96
	v_add_nc_u32_e32 v10, 0x3c0, v14
	v_add_co_u32 v12, vcc_lo, v0, v6
	v_mov_b32_e32 v11, v15
	s_wait_alu 0xfffd
	v_add_co_ci_u32_e32 v13, vcc_lo, v1, v7, vcc_lo
	v_lshlrev_b64_e32 v[16:17], 3, v[8:9]
	ds_load_2addr_b64 v[6:9], v18 offset0:64 offset1:160
	v_add_nc_u32_e32 v18, 0x420, v14
	v_lshlrev_b64_e32 v[10:11], 3, v[10:11]
	v_add_nc_u32_e32 v20, 0x480, v14
	v_add_nc_u32_e32 v22, 0x2000, v24
	v_add_co_u32 v16, vcc_lo, v0, v16
	v_lshlrev_b64_e32 v[18:19], 3, v[18:19]
	s_wait_alu 0xfffd
	v_add_co_ci_u32_e32 v17, vcc_lo, v1, v17, vcc_lo
	v_add_co_u32 v10, vcc_lo, v0, v10
	s_wait_alu 0xfffd
	v_add_co_ci_u32_e32 v11, vcc_lo, v1, v11, vcc_lo
	v_add_co_u32 v18, vcc_lo, v0, v18
	s_wait_alu 0xfffd
	v_add_co_ci_u32_e32 v19, vcc_lo, v1, v19, vcc_lo
	s_wait_dscnt 0x1
	s_clause 0x1
	global_store_b64 v[12:13], v[2:3], off
	global_store_b64 v[16:17], v[4:5], off
	s_wait_dscnt 0x0
	s_clause 0x1
	global_store_b64 v[10:11], v[6:7], off
	global_store_b64 v[18:19], v[8:9], off
	v_lshlrev_b64_e32 v[6:7], 3, v[20:21]
	v_dual_mov_b32 v9, v15 :: v_dual_add_nc_u32 v8, 0x4e0, v14
	v_dual_mov_b32 v23, v15 :: v_dual_add_nc_u32 v18, 0x2800, v24
	ds_load_2addr_b64 v[2:5], v22 offset0:128 offset1:224
	v_add_co_u32 v12, vcc_lo, v0, v6
	v_dual_mov_b32 v11, v15 :: v_dual_add_nc_u32 v10, 0x540, v14
	s_wait_alu 0xfffd
	v_add_co_ci_u32_e32 v13, vcc_lo, v1, v7, vcc_lo
	v_lshlrev_b64_e32 v[16:17], 3, v[8:9]
	ds_load_2addr_b64 v[6:9], v18 offset0:64 offset1:160
	v_dual_mov_b32 v19, v15 :: v_dual_add_nc_u32 v18, 0x5a0, v14
	v_lshlrev_b64_e32 v[10:11], 3, v[10:11]
	v_add_nc_u32_e32 v20, 0x600, v14
	v_add_co_u32 v16, vcc_lo, v0, v16
	s_delay_alu instid0(VALU_DEP_4)
	v_lshlrev_b64_e32 v[18:19], 3, v[18:19]
	s_wait_alu 0xfffd
	v_add_co_ci_u32_e32 v17, vcc_lo, v1, v17, vcc_lo
	v_add_co_u32 v10, vcc_lo, v0, v10
	s_wait_alu 0xfffd
	v_add_co_ci_u32_e32 v11, vcc_lo, v1, v11, vcc_lo
	v_add_co_u32 v18, vcc_lo, v0, v18
	s_wait_alu 0xfffd
	v_add_co_ci_u32_e32 v19, vcc_lo, v1, v19, vcc_lo
	s_wait_dscnt 0x1
	s_clause 0x1
	global_store_b64 v[12:13], v[2:3], off
	global_store_b64 v[16:17], v[4:5], off
	s_wait_dscnt 0x0
	s_clause 0x1
	global_store_b64 v[10:11], v[6:7], off
	global_store_b64 v[18:19], v[8:9], off
	v_lshlrev_b64_e32 v[6:7], 3, v[20:21]
	v_add_nc_u32_e32 v22, 0x3000, v24
	v_dual_mov_b32 v27, v15 :: v_dual_add_nc_u32 v8, 0x660, v14
	v_dual_mov_b32 v9, v15 :: v_dual_add_nc_u32 v18, 0x3400, v24
	ds_load_2addr_b64 v[2:5], v22 offset1:96
	v_add_co_u32 v12, vcc_lo, v0, v6
	v_dual_mov_b32 v11, v15 :: v_dual_add_nc_u32 v10, 0x6c0, v14
	s_wait_alu 0xfffd
	v_add_co_ci_u32_e32 v13, vcc_lo, v1, v7, vcc_lo
	v_lshlrev_b64_e32 v[16:17], 3, v[8:9]
	ds_load_2addr_b64 v[6:9], v18 offset0:64 offset1:160
	v_dual_mov_b32 v19, v15 :: v_dual_add_nc_u32 v18, 0x720, v14
	v_lshlrev_b64_e32 v[10:11], 3, v[10:11]
	v_add_nc_u32_e32 v20, 0x780, v14
	v_add_co_u32 v16, vcc_lo, v0, v16
	s_delay_alu instid0(VALU_DEP_4)
	v_lshlrev_b64_e32 v[18:19], 3, v[18:19]
	s_wait_alu 0xfffd
	v_add_co_ci_u32_e32 v17, vcc_lo, v1, v17, vcc_lo
	v_add_co_u32 v10, vcc_lo, v0, v10
	s_wait_alu 0xfffd
	v_add_co_ci_u32_e32 v11, vcc_lo, v1, v11, vcc_lo
	v_add_co_u32 v18, vcc_lo, v0, v18
	s_wait_alu 0xfffd
	v_add_co_ci_u32_e32 v19, vcc_lo, v1, v19, vcc_lo
	s_wait_dscnt 0x1
	s_clause 0x1
	global_store_b64 v[12:13], v[2:3], off
	global_store_b64 v[16:17], v[4:5], off
	s_wait_dscnt 0x0
	s_clause 0x1
	global_store_b64 v[10:11], v[6:7], off
	global_store_b64 v[18:19], v[8:9], off
	v_lshlrev_b64_e32 v[6:7], 3, v[20:21]
	v_add_nc_u32_e32 v22, 0x3800, v24
	v_dual_mov_b32 v9, v15 :: v_dual_add_nc_u32 v8, 0x7e0, v14
	v_add_nc_u32_e32 v18, 0x4000, v24
	v_add_nc_u32_e32 v10, 0x840, v14
	ds_load_2addr_b64 v[2:5], v22 offset0:128 offset1:224
	v_add_co_u32 v12, vcc_lo, v0, v6
	v_mov_b32_e32 v11, v15
	s_wait_alu 0xfffd
	v_add_co_ci_u32_e32 v13, vcc_lo, v1, v7, vcc_lo
	v_lshlrev_b64_e32 v[16:17], 3, v[8:9]
	ds_load_2addr_b64 v[6:9], v18 offset0:64 offset1:160
	v_dual_mov_b32 v19, v15 :: v_dual_add_nc_u32 v18, 0x8a0, v14
	v_lshlrev_b64_e32 v[10:11], 3, v[10:11]
	v_add_nc_u32_e32 v20, 0x900, v14
	v_add_co_u32 v16, vcc_lo, v0, v16
	s_delay_alu instid0(VALU_DEP_4)
	v_lshlrev_b64_e32 v[18:19], 3, v[18:19]
	s_wait_alu 0xfffd
	v_add_co_ci_u32_e32 v17, vcc_lo, v1, v17, vcc_lo
	v_add_co_u32 v10, vcc_lo, v0, v10
	s_wait_alu 0xfffd
	v_add_co_ci_u32_e32 v11, vcc_lo, v1, v11, vcc_lo
	v_add_co_u32 v18, vcc_lo, v0, v18
	v_add_nc_u32_e32 v22, 0x960, v14
	s_wait_alu 0xfffd
	v_add_co_ci_u32_e32 v19, vcc_lo, v1, v19, vcc_lo
	v_lshlrev_b64_e32 v[20:21], 3, v[20:21]
	s_wait_dscnt 0x1
	s_clause 0x1
	global_store_b64 v[12:13], v[2:3], off
	global_store_b64 v[16:17], v[4:5], off
	s_wait_dscnt 0x0
	s_clause 0x1
	global_store_b64 v[10:11], v[6:7], off
	global_store_b64 v[18:19], v[8:9], off
	v_dual_mov_b32 v11, v15 :: v_dual_add_nc_u32 v10, 0x9c0, v14
	v_lshlrev_b64_e32 v[6:7], 3, v[22:23]
	v_add_nc_u32_e32 v12, 0xa20, v14
	v_add_co_u32 v16, vcc_lo, v0, v20
	s_delay_alu instid0(VALU_DEP_4)
	v_lshlrev_b64_e32 v[10:11], 3, v[10:11]
	s_wait_alu 0xfffd
	v_add_co_ci_u32_e32 v17, vcc_lo, v1, v21, vcc_lo
	v_mov_b32_e32 v13, v15
	v_add_co_u32 v18, vcc_lo, v0, v6
	v_add_nc_u32_e32 v26, 0x5000, v24
	v_add_nc_u32_e32 v8, 0x4c00, v24
	s_wait_alu 0xfffd
	v_add_co_ci_u32_e32 v19, vcc_lo, v1, v7, vcc_lo
	v_dual_mov_b32 v21, v15 :: v_dual_add_nc_u32 v20, 0xa80, v14
	v_add_co_u32 v22, vcc_lo, v0, v10
	ds_load_2addr_b64 v[2:5], v25 offset1:96
	v_lshlrev_b64_e32 v[24:25], 3, v[12:13]
	s_wait_alu 0xfffd
	v_add_co_ci_u32_e32 v23, vcc_lo, v1, v11, vcc_lo
	ds_load_2addr_b64 v[10:13], v26 offset0:128 offset1:224
	v_add_nc_u32_e32 v26, 0xae0, v14
	ds_load_2addr_b64 v[6:9], v8 offset0:64 offset1:160
	v_lshlrev_b64_e32 v[20:21], 3, v[20:21]
	v_add_co_u32 v24, vcc_lo, v0, v24
	v_lshlrev_b64_e32 v[26:27], 3, v[26:27]
	s_wait_alu 0xfffd
	v_add_co_ci_u32_e32 v25, vcc_lo, v1, v25, vcc_lo
	s_delay_alu instid0(VALU_DEP_4)
	v_add_co_u32 v20, vcc_lo, v0, v20
	s_wait_alu 0xfffd
	v_add_co_ci_u32_e32 v21, vcc_lo, v1, v21, vcc_lo
	v_add_co_u32 v26, vcc_lo, v0, v26
	s_wait_alu 0xfffd
	v_add_co_ci_u32_e32 v27, vcc_lo, v1, v27, vcc_lo
	v_cmp_eq_u32_e32 vcc_lo, 0x5f, v14
	s_wait_dscnt 0x2
	s_clause 0x1
	global_store_b64 v[16:17], v[2:3], off
	global_store_b64 v[18:19], v[4:5], off
	s_wait_dscnt 0x0
	s_clause 0x3
	global_store_b64 v[22:23], v[6:7], off
	global_store_b64 v[24:25], v[8:9], off
	;; [unrolled: 1-line block ×4, first 2 shown]
	s_and_b32 exec_lo, exec_lo, vcc_lo
	s_cbranch_execz .LBB0_20
; %bb.19:
	ds_load_b64 v[2:3], v15 offset:23040
	s_wait_dscnt 0x0
	global_store_b64 v[0:1], v[2:3], off offset:23040
.LBB0_20:
	s_nop 0
	s_sendmsg sendmsg(MSG_DEALLOC_VGPRS)
	s_endpgm
	.section	.rodata,"a",@progbits
	.p2align	6, 0x0
	.amdhsa_kernel fft_rtc_fwd_len2880_factors_10_6_6_2_2_2_wgs_96_tpt_96_halfLds_sp_op_CI_CI_unitstride_sbrr_R2C_dirReg
		.amdhsa_group_segment_fixed_size 0
		.amdhsa_private_segment_fixed_size 0
		.amdhsa_kernarg_size 104
		.amdhsa_user_sgpr_count 2
		.amdhsa_user_sgpr_dispatch_ptr 0
		.amdhsa_user_sgpr_queue_ptr 0
		.amdhsa_user_sgpr_kernarg_segment_ptr 1
		.amdhsa_user_sgpr_dispatch_id 0
		.amdhsa_user_sgpr_private_segment_size 0
		.amdhsa_wavefront_size32 1
		.amdhsa_uses_dynamic_stack 0
		.amdhsa_enable_private_segment 0
		.amdhsa_system_sgpr_workgroup_id_x 1
		.amdhsa_system_sgpr_workgroup_id_y 0
		.amdhsa_system_sgpr_workgroup_id_z 0
		.amdhsa_system_sgpr_workgroup_info 0
		.amdhsa_system_vgpr_workitem_id 0
		.amdhsa_next_free_vgpr 171
		.amdhsa_next_free_sgpr 39
		.amdhsa_reserve_vcc 1
		.amdhsa_float_round_mode_32 0
		.amdhsa_float_round_mode_16_64 0
		.amdhsa_float_denorm_mode_32 3
		.amdhsa_float_denorm_mode_16_64 3
		.amdhsa_fp16_overflow 0
		.amdhsa_workgroup_processor_mode 1
		.amdhsa_memory_ordered 1
		.amdhsa_forward_progress 0
		.amdhsa_round_robin_scheduling 0
		.amdhsa_exception_fp_ieee_invalid_op 0
		.amdhsa_exception_fp_denorm_src 0
		.amdhsa_exception_fp_ieee_div_zero 0
		.amdhsa_exception_fp_ieee_overflow 0
		.amdhsa_exception_fp_ieee_underflow 0
		.amdhsa_exception_fp_ieee_inexact 0
		.amdhsa_exception_int_div_zero 0
	.end_amdhsa_kernel
	.text
.Lfunc_end0:
	.size	fft_rtc_fwd_len2880_factors_10_6_6_2_2_2_wgs_96_tpt_96_halfLds_sp_op_CI_CI_unitstride_sbrr_R2C_dirReg, .Lfunc_end0-fft_rtc_fwd_len2880_factors_10_6_6_2_2_2_wgs_96_tpt_96_halfLds_sp_op_CI_CI_unitstride_sbrr_R2C_dirReg
                                        ; -- End function
	.section	.AMDGPU.csdata,"",@progbits
; Kernel info:
; codeLenInByte = 21392
; NumSgprs: 41
; NumVgprs: 171
; ScratchSize: 0
; MemoryBound: 0
; FloatMode: 240
; IeeeMode: 1
; LDSByteSize: 0 bytes/workgroup (compile time only)
; SGPRBlocks: 5
; VGPRBlocks: 21
; NumSGPRsForWavesPerEU: 41
; NumVGPRsForWavesPerEU: 171
; Occupancy: 8
; WaveLimiterHint : 1
; COMPUTE_PGM_RSRC2:SCRATCH_EN: 0
; COMPUTE_PGM_RSRC2:USER_SGPR: 2
; COMPUTE_PGM_RSRC2:TRAP_HANDLER: 0
; COMPUTE_PGM_RSRC2:TGID_X_EN: 1
; COMPUTE_PGM_RSRC2:TGID_Y_EN: 0
; COMPUTE_PGM_RSRC2:TGID_Z_EN: 0
; COMPUTE_PGM_RSRC2:TIDIG_COMP_CNT: 0
	.text
	.p2alignl 7, 3214868480
	.fill 96, 4, 3214868480
	.type	__hip_cuid_ea92e16f29c8fd15,@object ; @__hip_cuid_ea92e16f29c8fd15
	.section	.bss,"aw",@nobits
	.globl	__hip_cuid_ea92e16f29c8fd15
__hip_cuid_ea92e16f29c8fd15:
	.byte	0                               ; 0x0
	.size	__hip_cuid_ea92e16f29c8fd15, 1

	.ident	"AMD clang version 19.0.0git (https://github.com/RadeonOpenCompute/llvm-project roc-6.4.0 25133 c7fe45cf4b819c5991fe208aaa96edf142730f1d)"
	.section	".note.GNU-stack","",@progbits
	.addrsig
	.addrsig_sym __hip_cuid_ea92e16f29c8fd15
	.amdgpu_metadata
---
amdhsa.kernels:
  - .args:
      - .actual_access:  read_only
        .address_space:  global
        .offset:         0
        .size:           8
        .value_kind:     global_buffer
      - .offset:         8
        .size:           8
        .value_kind:     by_value
      - .actual_access:  read_only
        .address_space:  global
        .offset:         16
        .size:           8
        .value_kind:     global_buffer
      - .actual_access:  read_only
        .address_space:  global
        .offset:         24
        .size:           8
        .value_kind:     global_buffer
      - .actual_access:  read_only
        .address_space:  global
        .offset:         32
        .size:           8
        .value_kind:     global_buffer
      - .offset:         40
        .size:           8
        .value_kind:     by_value
      - .actual_access:  read_only
        .address_space:  global
        .offset:         48
        .size:           8
        .value_kind:     global_buffer
      - .actual_access:  read_only
        .address_space:  global
        .offset:         56
        .size:           8
        .value_kind:     global_buffer
      - .offset:         64
        .size:           4
        .value_kind:     by_value
      - .actual_access:  read_only
        .address_space:  global
        .offset:         72
        .size:           8
        .value_kind:     global_buffer
      - .actual_access:  read_only
        .address_space:  global
        .offset:         80
        .size:           8
        .value_kind:     global_buffer
      - .actual_access:  read_only
        .address_space:  global
        .offset:         88
        .size:           8
        .value_kind:     global_buffer
      - .actual_access:  write_only
        .address_space:  global
        .offset:         96
        .size:           8
        .value_kind:     global_buffer
    .group_segment_fixed_size: 0
    .kernarg_segment_align: 8
    .kernarg_segment_size: 104
    .language:       OpenCL C
    .language_version:
      - 2
      - 0
    .max_flat_workgroup_size: 96
    .name:           fft_rtc_fwd_len2880_factors_10_6_6_2_2_2_wgs_96_tpt_96_halfLds_sp_op_CI_CI_unitstride_sbrr_R2C_dirReg
    .private_segment_fixed_size: 0
    .sgpr_count:     41
    .sgpr_spill_count: 0
    .symbol:         fft_rtc_fwd_len2880_factors_10_6_6_2_2_2_wgs_96_tpt_96_halfLds_sp_op_CI_CI_unitstride_sbrr_R2C_dirReg.kd
    .uniform_work_group_size: 1
    .uses_dynamic_stack: false
    .vgpr_count:     171
    .vgpr_spill_count: 0
    .wavefront_size: 32
    .workgroup_processor_mode: 1
amdhsa.target:   amdgcn-amd-amdhsa--gfx1201
amdhsa.version:
  - 1
  - 2
...

	.end_amdgpu_metadata
